;; amdgpu-corpus repo=ROCm/rocFFT kind=compiled arch=gfx906 opt=O3
	.text
	.amdgcn_target "amdgcn-amd-amdhsa--gfx906"
	.amdhsa_code_object_version 6
	.protected	bluestein_single_fwd_len224_dim1_half_op_CI_CI ; -- Begin function bluestein_single_fwd_len224_dim1_half_op_CI_CI
	.globl	bluestein_single_fwd_len224_dim1_half_op_CI_CI
	.p2align	8
	.type	bluestein_single_fwd_len224_dim1_half_op_CI_CI,@function
bluestein_single_fwd_len224_dim1_half_op_CI_CI: ; @bluestein_single_fwd_len224_dim1_half_op_CI_CI
; %bb.0:
	s_load_dwordx4 s[16:19], s[4:5], 0x28
	v_lshrrev_b32_e32 v1, 4, v0
	v_lshl_or_b32 v2, s6, 2, v1
	v_mov_b32_e32 v3, 0
	s_waitcnt lgkmcnt(0)
	v_cmp_gt_u64_e32 vcc, s[16:17], v[2:3]
	s_and_saveexec_b64 s[0:1], vcc
	s_cbranch_execz .LBB0_2
; %bb.1:
	s_load_dwordx4 s[8:11], s[4:5], 0x18
	s_load_dwordx4 s[0:3], s[4:5], 0x0
	v_and_b32_e32 v18, 15, v0
	v_lshlrev_b32_e32 v24, 2, v18
	v_mul_u32_u24_e32 v25, 0xe0, v1
	s_waitcnt lgkmcnt(0)
	s_load_dwordx4 s[12:15], s[8:9], 0x0
	global_load_dword v20, v24, s[0:1]
	s_load_dwordx4 s[8:11], s[10:11], 0x0
	v_mov_b32_e32 v13, 0xfffffd40
	v_or_b32_e32 v45, 32, v18
	s_waitcnt lgkmcnt(0)
	v_mad_u64_u32 v[4:5], s[6:7], s14, v2, 0
	v_mad_u64_u32 v[6:7], s[6:7], s12, v18, 0
	v_mov_b32_e32 v0, v5
	v_mul_lo_u16_e32 v47, 37, v45
	v_mov_b32_e32 v5, v7
	v_mad_u64_u32 v[7:8], s[6:7], s15, v2, v[0:1]
	v_mad_u64_u32 v[8:9], s[6:7], s13, v18, v[5:6]
	v_mov_b32_e32 v5, v7
	v_lshlrev_b64 v[4:5], 2, v[4:5]
	v_mov_b32_e32 v7, v8
	v_mov_b32_e32 v0, s19
	v_lshlrev_b64 v[6:7], 2, v[6:7]
	v_add_co_u32_e32 v4, vcc, s18, v4
	v_addc_co_u32_e32 v0, vcc, v0, v5, vcc
	v_add_co_u32_e32 v4, vcc, v4, v6
	v_addc_co_u32_e32 v5, vcc, v0, v7, vcc
	global_load_dword v17, v[4:5], off
	s_add_u32 s6, s0, 0x380
	v_or_b32_e32 v0, v25, v18
	s_addc_u32 s7, s1, 0
	s_lshl_b64 s[14:15], s[12:13], 7
	v_lshlrev_b32_e32 v23, 2, v0
	v_mov_b32_e32 v26, s15
	v_add_co_u32_e32 v0, vcc, s14, v4
	v_addc_co_u32_e32 v1, vcc, v5, v26, vcc
	global_load_dword v22, v24, s[0:1] offset:128
	global_load_dword v6, v24, s[0:1] offset:512
	global_load_dword v7, v24, s[0:1] offset:640
	global_load_dword v15, v24, s[0:1] offset:768
	global_load_dword v27, v[0:1], off
	v_add_co_u32_e32 v0, vcc, s14, v0
	v_addc_co_u32_e32 v1, vcc, v1, v26, vcc
	global_load_dword v28, v[0:1], off
	global_load_dword v10, v24, s[0:1] offset:448
	global_load_dword v19, v24, s[0:1] offset:384
	;; [unrolled: 1-line block ×4, first 2 shown]
	v_add_co_u32_e32 v0, vcc, s14, v0
	v_addc_co_u32_e32 v1, vcc, v1, v26, vcc
	global_load_dword v29, v[0:1], off
	global_load_dword v14, v24, s[0:1] offset:192
	v_add_co_u32_e32 v0, vcc, s14, v0
	v_addc_co_u32_e32 v1, vcc, v1, v26, vcc
	global_load_dword v30, v[0:1], off
	v_add_co_u32_e32 v0, vcc, s14, v0
	v_addc_co_u32_e32 v1, vcc, v1, v26, vcc
	global_load_dword v31, v[0:1], off
	;; [unrolled: 3-line block ×3, first 2 shown]
	v_mad_u64_u32 v[4:5], s[16:17], s12, v13, v[0:1]
	v_mad_u64_u32 v[0:1], s[16:17], s10, v2, 0
	s_mul_i32 s10, s13, 0xfffffd40
	s_sub_i32 s10, s10, s12
	v_add_u32_e32 v5, s10, v5
	global_load_dword v33, v[4:5], off
	global_load_dword v16, v24, s[0:1] offset:64
	v_add_co_u32_e32 v4, vcc, s14, v4
	v_addc_co_u32_e32 v5, vcc, v5, v26, vcc
	global_load_dword v34, v[4:5], off
	v_add_co_u32_e32 v4, vcc, s14, v4
	v_addc_co_u32_e32 v5, vcc, v5, v26, vcc
	global_load_dword v35, v[4:5], off
	;; [unrolled: 3-line block ×3, first 2 shown]
	v_add_co_u32_e32 v4, vcc, s14, v4
	v_addc_co_u32_e32 v5, vcc, v5, v26, vcc
	v_mad_u64_u32 v[1:2], s[10:11], s11, v2, v[1:2]
	s_movk_i32 s12, 0x3a52
	s_movk_i32 s13, 0x39e0
	;; [unrolled: 1-line block ×5, first 2 shown]
	s_mov_b32 s18, 0xb846
	s_movk_i32 s17, 0x370e
	s_mov_b32 s11, 0xffff
	v_or_b32_e32 v2, 16, v18
	v_lshrrev_b16_e32 v57, 8, v47
	v_mov_b32_e32 v63, s3
	v_or_b32_e32 v67, 64, v18
	v_mul_lo_u16_e32 v68, 0x93, v67
	s_waitcnt vmcnt(20)
	v_lshrrev_b32_e32 v8, 16, v17
	v_mul_f16_sdwa v9, v20, v17 dst_sel:DWORD dst_unused:UNUSED_PAD src0_sel:WORD_1 src1_sel:DWORD
	v_mul_f16_sdwa v36, v20, v8 dst_sel:DWORD dst_unused:UNUSED_PAD src0_sel:WORD_1 src1_sel:DWORD
	v_fma_f16 v37, v20, v8, -v9
	global_load_dword v39, v[4:5], off
	global_load_dword v8, v24, s[0:1] offset:832
	global_load_dword v9, v24, s[0:1] offset:704
	;; [unrolled: 1-line block ×3, first 2 shown]
	v_add_co_u32_e32 v4, vcc, s14, v4
	v_addc_co_u32_e32 v5, vcc, v5, v26, vcc
	v_fma_f16 v17, v20, v17, v36
	global_load_dword v36, v[4:5], off
	v_add_co_u32_e32 v4, vcc, s14, v4
	v_addc_co_u32_e32 v5, vcc, v5, v26, vcc
	global_load_dword v4, v[4:5], off
	v_pack_b32_f16 v17, v17, v37
	s_waitcnt vmcnt(21)
	v_lshrrev_b32_e32 v5, 16, v27
	ds_write_b32 v23, v17
	v_mul_f16_sdwa v17, v22, v5 dst_sel:DWORD dst_unused:UNUSED_PAD src0_sel:WORD_1 src1_sel:DWORD
	v_fma_f16 v26, v22, v27, v17
	v_mul_f16_sdwa v27, v22, v27 dst_sel:DWORD dst_unused:UNUSED_PAD src0_sel:WORD_1 src1_sel:DWORD
	v_fma_f16 v5, v22, v5, -v27
	v_pack_b32_f16 v5, v26, v5
	s_waitcnt vmcnt(20)
	v_lshrrev_b32_e32 v26, 16, v28
	s_waitcnt vmcnt(16)
	v_mul_f16_sdwa v27, v21, v26 dst_sel:DWORD dst_unused:UNUSED_PAD src0_sel:WORD_1 src1_sel:DWORD
	v_fma_f16 v27, v21, v28, v27
	v_mul_f16_sdwa v28, v21, v28 dst_sel:DWORD dst_unused:UNUSED_PAD src0_sel:WORD_1 src1_sel:DWORD
	v_fma_f16 v26, v21, v26, -v28
	v_pack_b32_f16 v26, v27, v26
	s_waitcnt vmcnt(15)
	v_lshrrev_b32_e32 v27, 16, v29
	v_mul_f16_sdwa v28, v19, v27 dst_sel:DWORD dst_unused:UNUSED_PAD src0_sel:WORD_1 src1_sel:DWORD
	v_fma_f16 v28, v19, v29, v28
	v_mul_f16_sdwa v29, v19, v29 dst_sel:DWORD dst_unused:UNUSED_PAD src0_sel:WORD_1 src1_sel:DWORD
	v_fma_f16 v27, v19, v27, -v29
	v_pack_b32_f16 v27, v28, v27
	s_waitcnt vmcnt(13)
	v_lshrrev_b32_e32 v28, 16, v30
	;; [unrolled: 7-line block ×5, first 2 shown]
	s_waitcnt vmcnt(9)
	v_mul_f16_sdwa v32, v16, v31 dst_sel:DWORD dst_unused:UNUSED_PAD src0_sel:WORD_1 src1_sel:DWORD
	v_fma_f16 v32, v16, v33, v32
	v_mul_f16_sdwa v33, v16, v33 dst_sel:DWORD dst_unused:UNUSED_PAD src0_sel:WORD_1 src1_sel:DWORD
	v_fma_f16 v31, v16, v31, -v33
	v_lshl_or_b32 v17, v25, 2, v24
	v_pack_b32_f16 v31, v32, v31
	ds_write2_b32 v17, v31, v5 offset0:16 offset1:32
	s_waitcnt vmcnt(8)
	v_lshrrev_b32_e32 v5, 16, v34
	v_mul_f16_sdwa v31, v14, v5 dst_sel:DWORD dst_unused:UNUSED_PAD src0_sel:WORD_1 src1_sel:DWORD
	v_mul_f16_sdwa v32, v14, v34 dst_sel:DWORD dst_unused:UNUSED_PAD src0_sel:WORD_1 src1_sel:DWORD
	v_fma_f16 v31, v14, v34, v31
	v_fma_f16 v5, v14, v5, -v32
	v_pack_b32_f16 v5, v31, v5
	ds_write2_b32 v17, v5, v26 offset0:48 offset1:64
	s_waitcnt vmcnt(7)
	v_lshrrev_b32_e32 v5, 16, v35
	v_mul_f16_sdwa v26, v12, v5 dst_sel:DWORD dst_unused:UNUSED_PAD src0_sel:WORD_1 src1_sel:DWORD
	v_mul_f16_sdwa v31, v12, v35 dst_sel:DWORD dst_unused:UNUSED_PAD src0_sel:WORD_1 src1_sel:DWORD
	v_fma_f16 v26, v12, v35, v26
	v_fma_f16 v5, v12, v5, -v31
	;; [unrolled: 8-line block ×3, first 2 shown]
	v_pack_b32_f16 v5, v26, v5
	ds_write2_b32 v17, v5, v28 offset0:112 offset1:128
	s_waitcnt vmcnt(5)
	v_lshrrev_b32_e32 v5, 16, v39
	s_waitcnt vmcnt(2)
	v_mul_f16_sdwa v26, v11, v5 dst_sel:DWORD dst_unused:UNUSED_PAD src0_sel:WORD_1 src1_sel:DWORD
	v_mul_f16_sdwa v27, v11, v39 dst_sel:DWORD dst_unused:UNUSED_PAD src0_sel:WORD_1 src1_sel:DWORD
	v_fma_f16 v26, v11, v39, v26
	v_fma_f16 v5, v11, v5, -v27
	v_pack_b32_f16 v5, v26, v5
	ds_write2_b32 v17, v5, v29 offset0:144 offset1:160
	s_waitcnt vmcnt(1)
	v_lshrrev_b32_e32 v5, 16, v36
	v_mul_f16_sdwa v26, v9, v5 dst_sel:DWORD dst_unused:UNUSED_PAD src0_sel:WORD_1 src1_sel:DWORD
	v_mul_f16_sdwa v27, v9, v36 dst_sel:DWORD dst_unused:UNUSED_PAD src0_sel:WORD_1 src1_sel:DWORD
	v_fma_f16 v26, v9, v36, v26
	v_fma_f16 v5, v9, v5, -v27
	v_pack_b32_f16 v5, v26, v5
	ds_write2_b32 v17, v5, v30 offset0:176 offset1:192
	s_waitcnt vmcnt(0)
	v_lshrrev_b32_e32 v5, 16, v4
	v_mul_f16_sdwa v26, v8, v5 dst_sel:DWORD dst_unused:UNUSED_PAD src0_sel:WORD_1 src1_sel:DWORD
	v_fma_f16 v26, v8, v4, v26
	v_mul_f16_sdwa v4, v8, v4 dst_sel:DWORD dst_unused:UNUSED_PAD src0_sel:WORD_1 src1_sel:DWORD
	v_fma_f16 v4, v8, v5, -v4
	v_pack_b32_f16 v4, v26, v4
	ds_write_b32 v17, v4 offset:832
	s_waitcnt lgkmcnt(0)
	; wave barrier
	s_waitcnt lgkmcnt(0)
	ds_read2_b32 v[4:5], v17 offset0:16 offset1:32
	ds_read2_b32 v[26:27], v17 offset0:176 offset1:192
	;; [unrolled: 1-line block ×5, first 2 shown]
	ds_read_b32 v37, v23
	ds_read_b32 v38, v17 offset:832
	s_waitcnt lgkmcnt(5)
	v_pk_add_f16 v34, v5, v27
	v_pk_add_f16 v5, v5, v27 neg_lo:[0,1] neg_hi:[0,1]
	s_waitcnt lgkmcnt(4)
	v_pk_add_f16 v35, v28, v26
	v_pk_add_f16 v28, v28, v26 neg_lo:[0,1] neg_hi:[0,1]
	ds_read2_b32 v[26:27], v17 offset0:48 offset1:64
	s_waitcnt lgkmcnt(4)
	v_pk_add_f16 v36, v29, v31
	v_pk_add_f16 v29, v31, v29 neg_lo:[0,1] neg_hi:[0,1]
	s_waitcnt lgkmcnt(3)
	v_pk_add_f16 v31, v30, v32
	v_pk_add_f16 v30, v32, v30 neg_lo:[0,1] neg_hi:[0,1]
	;; [unrolled: 3-line block ×3, first 2 shown]
	v_pk_add_f16 v33, v32, v34
	v_pk_add_f16 v40, v29, v27
	;; [unrolled: 1-line block ×3, first 2 shown]
	v_pk_add_f16 v39, v32, v34 neg_lo:[0,1] neg_hi:[0,1]
	v_pk_add_f16 v34, v34, v36 neg_lo:[0,1] neg_hi:[0,1]
	v_pk_add_f16 v40, v40, v5
	v_pk_add_f16 v41, v5, v29 neg_lo:[0,1] neg_hi:[0,1]
	v_pk_add_f16 v5, v27, v5 neg_lo:[0,1] neg_hi:[0,1]
	v_pk_add_f16 v37, v37, v33
	v_pk_mul_f16 v34, v34, s12 op_sel_hi:[1,0]
	v_pk_mul_f16 v39, v39, s13 op_sel_hi:[1,0]
	;; [unrolled: 1-line block ×3, first 2 shown]
	s_movk_i32 s14, 0x3cab
	v_pk_add_f16 v32, v36, v32 neg_lo:[0,1] neg_hi:[0,1]
	v_pk_add_f16 v27, v29, v27 neg_lo:[0,1] neg_hi:[0,1]
	v_pk_fma_f16 v33, v33, s14, v37 op_sel_hi:[1,0,1] neg_lo:[1,0,0] neg_hi:[1,0,0]
	v_pk_add_f16 v42, v34, v39 op_sel:[1,1] op_sel_hi:[0,0] neg_lo:[1,1] neg_hi:[1,1]
	v_pk_fma_f16 v43, v41, s15, v5 op_sel_hi:[1,0,1] neg_lo:[1,0,1] neg_hi:[1,0,1]
	v_pk_fma_f16 v29, v32, s10, v39 op_sel_hi:[1,0,1] neg_lo:[1,0,0] neg_hi:[1,0,0]
	;; [unrolled: 1-line block ×3, first 2 shown]
	v_pk_add_f16 v42, v42, v33 op_sel:[0,1] op_sel_hi:[1,0]
	v_pk_fma_f16 v43, v40, s17, v43 op_sel_hi:[1,0,1]
	v_pk_add_f16 v29, v29, v33
	v_pk_fma_f16 v5, v40, s17, v5 op_sel_hi:[1,0,1]
	v_pk_add_f16 v44, v42, v43
	v_pk_add_f16 v42, v42, v43 neg_lo:[0,1] neg_hi:[0,1]
	v_pk_add_f16 v36, v29, v5 op_sel:[0,1] op_sel_hi:[1,0] neg_lo:[0,1] neg_hi:[0,1]
	v_pk_add_f16 v5, v29, v5 op_sel:[0,1] op_sel_hi:[1,0]
	v_mul_u32_u24_e32 v29, 7, v18
	v_add_lshl_u32 v39, v25, v29, 2
	v_alignbit_b32 v29, v42, v44, 16
	v_bfi_b32 v43, s11, v36, v5
	s_waitcnt lgkmcnt(0)
	; wave barrier
	ds_write2_b32 v39, v29, v43 offset0:2 offset1:3
	v_bfi_b32 v5, s11, v5, v36
	v_alignbit_b32 v29, v44, v42, 16
	ds_write2_b32 v39, v5, v29 offset0:4 offset1:5
	v_pk_mul_f16 v29, v41, s15 op_sel_hi:[1,0]
	v_pk_fma_f16 v5, v32, s10, v34 op_sel_hi:[1,0,1]
	v_pk_fma_f16 v27, v27, s18, v29 op_sel_hi:[1,0,1]
	v_pk_add_f16 v5, v5, v33
	v_pk_fma_f16 v27, v40, s17, v27 op_sel_hi:[1,0,1]
	v_pk_add_f16 v29, v5, v27 op_sel:[0,1] op_sel_hi:[1,0]
	v_pk_add_f16 v5, v5, v27 op_sel:[0,1] op_sel_hi:[1,0] neg_lo:[0,1] neg_hi:[0,1]
	v_bfi_b32 v27, s11, v29, v5
	ds_write2_b32 v39, v37, v27 offset1:1
	v_pk_add_f16 v27, v26, v38
	v_pk_add_f16 v26, v26, v38 neg_lo:[0,1] neg_hi:[0,1]
	v_bfi_b32 v5, s11, v5, v29
	v_pk_add_f16 v29, v35, v27
	v_pk_add_f16 v32, v30, v28
	;; [unrolled: 1-line block ×3, first 2 shown]
	ds_write_b32 v39, v5 offset:24
	v_pk_add_f16 v5, v35, v27 neg_lo:[0,1] neg_hi:[0,1]
	v_pk_add_f16 v27, v27, v31 neg_lo:[0,1] neg_hi:[0,1]
	v_pk_add_f16 v32, v32, v26
	v_pk_add_f16 v33, v26, v30 neg_lo:[0,1] neg_hi:[0,1]
	v_pk_add_f16 v26, v28, v26 neg_lo:[0,1] neg_hi:[0,1]
	v_pk_add_f16 v4, v4, v29
	v_pk_mul_f16 v27, v27, s12 op_sel_hi:[1,0]
	v_pk_mul_f16 v5, v5, s13 op_sel_hi:[1,0]
	;; [unrolled: 1-line block ×3, first 2 shown]
	v_pk_add_f16 v31, v31, v35 neg_lo:[0,1] neg_hi:[0,1]
	v_pk_add_f16 v28, v30, v28 neg_lo:[0,1] neg_hi:[0,1]
	v_pk_fma_f16 v29, v29, s14, v4 op_sel_hi:[1,0,1] neg_lo:[1,0,0] neg_hi:[1,0,0]
	v_pk_add_f16 v34, v27, v5 op_sel:[1,1] op_sel_hi:[0,0] neg_lo:[1,1] neg_hi:[1,1]
	v_pk_fma_f16 v36, v33, s15, v26 op_sel_hi:[1,0,1] neg_lo:[1,0,1] neg_hi:[1,0,1]
	v_pk_fma_f16 v5, v31, s10, v5 op_sel_hi:[1,0,1] neg_lo:[1,0,0] neg_hi:[1,0,0]
	;; [unrolled: 1-line block ×3, first 2 shown]
	v_pk_add_f16 v34, v34, v29 op_sel:[0,1] op_sel_hi:[1,0]
	v_pk_fma_f16 v36, v32, s17, v36 op_sel_hi:[1,0,1]
	v_pk_add_f16 v5, v5, v29
	v_pk_fma_f16 v26, v32, s17, v26 op_sel_hi:[1,0,1]
	v_pk_add_f16 v37, v34, v36
	v_pk_add_f16 v34, v34, v36 neg_lo:[0,1] neg_hi:[0,1]
	v_pk_add_f16 v30, v5, v26 op_sel:[0,1] op_sel_hi:[1,0] neg_lo:[0,1] neg_hi:[0,1]
	v_pk_add_f16 v5, v5, v26 op_sel:[0,1] op_sel_hi:[1,0]
	v_mul_u32_u24_e32 v26, 7, v2
	v_add_lshl_u32 v40, v25, v26, 2
	v_alignbit_b32 v26, v34, v37, 16
	v_bfi_b32 v35, s11, v30, v5
	ds_write2_b32 v40, v26, v35 offset0:2 offset1:3
	v_bfi_b32 v5, s11, v5, v30
	v_alignbit_b32 v26, v37, v34, 16
	ds_write2_b32 v40, v5, v26 offset0:4 offset1:5
	v_pk_mul_f16 v26, v33, s15 op_sel_hi:[1,0]
	v_pk_fma_f16 v5, v31, s10, v27 op_sel_hi:[1,0,1]
	v_pk_fma_f16 v26, v28, s18, v26 op_sel_hi:[1,0,1]
	v_pk_add_f16 v5, v5, v29
	v_pk_fma_f16 v26, v32, s17, v26 op_sel_hi:[1,0,1]
	v_pk_add_f16 v27, v5, v26 op_sel:[0,1] op_sel_hi:[1,0]
	v_pk_add_f16 v5, v5, v26 op_sel:[0,1] op_sel_hi:[1,0] neg_lo:[0,1] neg_hi:[0,1]
	v_bfi_b32 v26, s11, v27, v5
	ds_write2_b32 v40, v4, v26 offset1:1
	v_bfi_b32 v4, s11, v5, v27
	ds_write_b32 v40, v4 offset:24
	v_mul_lo_u16_e32 v4, 37, v18
	v_lshrrev_b16_e32 v30, 8, v4
	v_mul_lo_u16_e32 v4, 7, v30
	v_sub_u16_e32 v31, v18, v4
	v_mov_b32_e32 v5, 2
	v_lshlrev_b32_sdwa v4, v5, v31 dst_sel:DWORD dst_unused:UNUSED_PAD src0_sel:DWORD src1_sel:BYTE_0
	s_waitcnt lgkmcnt(0)
	; wave barrier
	s_waitcnt lgkmcnt(0)
	global_load_dword v37, v4, s[2:3]
	v_mul_lo_u16_e32 v27, 7, v57
	v_mul_lo_u16_e32 v32, 37, v2
	v_sub_u16_e32 v58, v45, v27
	v_lshrrev_b16_e32 v36, 8, v32
	v_lshlrev_b32_sdwa v27, v5, v58 dst_sel:DWORD dst_unused:UNUSED_PAD src0_sel:DWORD src1_sel:BYTE_0
	global_load_dword v27, v27, s[2:3]
	v_mul_lo_u16_e32 v4, 7, v36
	v_sub_u16_e32 v38, v2, v4
	v_lshlrev_b32_sdwa v4, v5, v38 dst_sel:DWORD dst_unused:UNUSED_PAD src0_sel:DWORD src1_sel:BYTE_0
	global_load_dword v26, v4, s[2:3]
	v_add_co_u32_e32 v28, vcc, -14, v18
	v_addc_co_u32_e64 v29, s[16:17], 0, -1, vcc
	v_cmp_gt_u32_e32 vcc, 14, v18
	v_or_b32_e32 v4, 48, v18
	v_cndmask_b32_e64 v34, v29, 0, vcc
	v_cndmask_b32_e32 v33, v28, v18, vcc
	v_lshlrev_b64 v[28:29], 2, v[33:34]
	v_mul_lo_u16_e32 v66, 37, v4
	v_lshrrev_b16_e32 v59, 8, v66
	v_add_co_u32_e32 v34, vcc, s2, v28
	v_mul_lo_u16_e32 v28, 7, v59
	v_sub_u16_e32 v60, v4, v28
	v_lshlrev_b32_sdwa v28, v5, v60 dst_sel:DWORD dst_unused:UNUSED_PAD src0_sel:DWORD src1_sel:BYTE_0
	v_addc_co_u32_e32 v35, vcc, v63, v29, vcc
	global_load_dword v29, v28, s[2:3]
	v_lshrrev_b16_e32 v61, 10, v68
	v_mul_lo_u16_e32 v28, 7, v61
	v_sub_u16_e32 v62, v67, v28
	v_mad_legacy_u16 v46, v30, 14, v31
	v_lshlrev_b32_sdwa v30, v5, v62 dst_sel:DWORD dst_unused:UNUSED_PAD src0_sel:DWORD src1_sel:BYTE_0
	global_load_dword v30, v30, s[2:3]
	v_or_b32_e32 v69, 0x50, v18
	v_mul_lo_u16_e32 v70, 0x93, v69
	v_or_b32_e32 v71, 0x60, v18
	v_lshrrev_b16_e32 v64, 10, v70
	v_mul_lo_u16_e32 v72, 0x93, v71
	v_mul_lo_u16_e32 v28, 7, v64
	v_lshrrev_b16_e32 v73, 10, v72
	v_sub_u16_e32 v65, v69, v28
	v_mul_lo_u16_e32 v28, 7, v73
	v_sub_u16_e32 v74, v71, v28
	v_lshlrev_b32_sdwa v43, v5, v65 dst_sel:DWORD dst_unused:UNUSED_PAD src0_sel:DWORD src1_sel:BYTE_0
	ds_read2_b32 v[41:42], v17 offset0:112 offset1:128
	v_lshlrev_b32_sdwa v44, v5, v74 dst_sel:DWORD dst_unused:UNUSED_PAD src0_sel:DWORD src1_sel:BYTE_0
	global_load_dword v31, v43, s[2:3]
	global_load_dword v28, v44, s[2:3]
	ds_read_b32 v48, v23
	ds_read_b32 v75, v17 offset:832
	s_waitcnt lgkmcnt(2)
	v_lshrrev_b32_e32 v43, 16, v41
	v_and_b32_e32 v46, 0xff, v46
	v_add_lshl_u32 v46, v25, v46, 2
	v_mad_legacy_u16 v36, v36, 14, v38
	v_and_b32_e32 v36, 0xff, v36
	v_cmp_lt_u32_e32 vcc, 13, v18
	v_lshrrev_b16_e32 v76, 11, v68
	v_lshrrev_b16_e32 v78, 11, v70
	;; [unrolled: 1-line block ×4, first 2 shown]
	s_load_dwordx2 s[4:5], s[4:5], 0x38
	v_lshlrev_b64 v[0:1], 2, v[0:1]
	s_waitcnt vmcnt(6)
	v_mul_f16_sdwa v44, v41, v37 dst_sel:DWORD dst_unused:UNUSED_PAD src0_sel:DWORD src1_sel:WORD_1
	v_fma_f16 v44, v43, v37, v44
	v_mul_f16_sdwa v43, v43, v37 dst_sel:DWORD dst_unused:UNUSED_PAD src0_sel:DWORD src1_sel:WORD_1
	v_fma_f16 v41, v41, v37, -v43
	s_waitcnt lgkmcnt(0)
	v_lshrrev_b32_e32 v43, 16, v48
	v_sub_f16_e32 v41, v48, v41
	v_sub_f16_e32 v44, v43, v44
	v_fma_f16 v48, v48, 2.0, -v41
	v_fma_f16 v43, v43, 2.0, -v44
	v_pack_b32_f16 v48, v48, v43
	v_pack_b32_f16 v41, v41, v44
	ds_read2_b32 v[43:44], v17 offset0:16 offset1:32
	ds_read2_b32 v[49:50], v17 offset0:144 offset1:160
	;; [unrolled: 1-line block ×5, first 2 shown]
	s_waitcnt lgkmcnt(0)
	; wave barrier
	s_waitcnt lgkmcnt(0)
	ds_write2_b32 v46, v48, v41 offset1:7
	v_lshrrev_b32_e32 v41, 16, v42
	s_waitcnt vmcnt(4)
	v_mul_f16_sdwa v48, v41, v26 dst_sel:DWORD dst_unused:UNUSED_PAD src0_sel:DWORD src1_sel:WORD_1
	v_fma_f16 v48, v42, v26, -v48
	v_mul_f16_sdwa v42, v42, v26 dst_sel:DWORD dst_unused:UNUSED_PAD src0_sel:DWORD src1_sel:WORD_1
	v_fma_f16 v41, v41, v26, v42
	v_lshrrev_b32_e32 v42, 16, v43
	v_sub_f16_e32 v38, v43, v48
	v_sub_f16_e32 v41, v42, v41
	v_fma_f16 v42, v42, 2.0, -v41
	v_fma_f16 v43, v43, 2.0, -v38
	v_pack_b32_f16 v42, v43, v42
	v_pack_b32_f16 v38, v38, v41
	v_add_lshl_u32 v48, v25, v36, 2
	ds_write2_b32 v48, v42, v38 offset1:7
	v_lshrrev_b32_e32 v36, 16, v49
	v_mul_f16_sdwa v38, v49, v27 dst_sel:DWORD dst_unused:UNUSED_PAD src0_sel:DWORD src1_sel:WORD_1
	v_fma_f16 v38, v36, v27, v38
	v_mul_f16_sdwa v36, v36, v27 dst_sel:DWORD dst_unused:UNUSED_PAD src0_sel:DWORD src1_sel:WORD_1
	v_fma_f16 v36, v49, v27, -v36
	v_lshrrev_b32_e32 v41, 16, v44
	v_sub_f16_e32 v36, v44, v36
	v_mad_legacy_u16 v43, v57, 14, v58
	v_sub_f16_e32 v38, v41, v38
	v_fma_f16 v42, v44, 2.0, -v36
	v_fma_f16 v41, v41, 2.0, -v38
	v_pack_b32_f16 v36, v36, v38
	v_and_b32_e32 v38, 0xff, v43
	v_pack_b32_f16 v41, v42, v41
	v_add_lshl_u32 v49, v25, v38, 2
	ds_write2_b32 v49, v41, v36 offset1:7
	v_lshrrev_b32_e32 v36, 16, v50
	s_waitcnt vmcnt(3)
	v_mul_f16_sdwa v38, v36, v29 dst_sel:DWORD dst_unused:UNUSED_PAD src0_sel:DWORD src1_sel:WORD_1
	v_mul_f16_sdwa v41, v50, v29 dst_sel:DWORD dst_unused:UNUSED_PAD src0_sel:DWORD src1_sel:WORD_1
	v_fma_f16 v38, v50, v29, -v38
	v_fma_f16 v36, v36, v29, v41
	v_lshrrev_b32_e32 v42, 16, v51
	v_mad_legacy_u16 v41, v59, 14, v60
	v_sub_f16_e32 v38, v51, v38
	v_sub_f16_e32 v36, v42, v36
	v_fma_f16 v42, v42, 2.0, -v36
	v_fma_f16 v43, v51, 2.0, -v38
	v_pack_b32_f16 v36, v38, v36
	v_and_b32_e32 v38, 0xff, v41
	v_pack_b32_f16 v42, v43, v42
	v_add_lshl_u32 v50, v25, v38, 2
	ds_write2_b32 v50, v42, v36 offset1:7
	v_lshrrev_b32_e32 v36, 16, v53
	s_waitcnt vmcnt(2)
	v_mul_f16_sdwa v38, v53, v30 dst_sel:DWORD dst_unused:UNUSED_PAD src0_sel:DWORD src1_sel:WORD_1
	v_fma_f16 v38, v36, v30, v38
	v_mul_f16_sdwa v36, v36, v30 dst_sel:DWORD dst_unused:UNUSED_PAD src0_sel:DWORD src1_sel:WORD_1
	v_fma_f16 v36, v53, v30, -v36
	v_lshrrev_b32_e32 v41, 16, v52
	v_sub_f16_e32 v36, v52, v36
	v_mul_lo_u16_e32 v43, 14, v61
	v_sub_f16_e32 v38, v41, v38
	v_fma_f16 v42, v52, 2.0, -v36
	v_add_u32_sdwa v43, v43, v62 dst_sel:DWORD dst_unused:UNUSED_PAD src0_sel:DWORD src1_sel:BYTE_0
	v_fma_f16 v41, v41, 2.0, -v38
	v_pack_b32_f16 v41, v42, v41
	v_pack_b32_f16 v36, v36, v38
	v_add_lshl_u32 v51, v25, v43, 2
	ds_write2_b32 v51, v41, v36 offset1:7
	v_lshrrev_b32_e32 v36, 16, v54
	s_waitcnt vmcnt(1)
	v_mul_f16_sdwa v38, v36, v31 dst_sel:DWORD dst_unused:UNUSED_PAD src0_sel:DWORD src1_sel:WORD_1
	v_mul_f16_sdwa v41, v54, v31 dst_sel:DWORD dst_unused:UNUSED_PAD src0_sel:DWORD src1_sel:WORD_1
	v_fma_f16 v38, v54, v31, -v38
	v_fma_f16 v36, v36, v31, v41
	v_lshrrev_b32_e32 v42, 16, v55
	v_mul_lo_u16_e32 v41, 14, v64
	v_sub_f16_e32 v38, v55, v38
	v_sub_f16_e32 v36, v42, v36
	v_add_u32_sdwa v41, v41, v65 dst_sel:DWORD dst_unused:UNUSED_PAD src0_sel:DWORD src1_sel:BYTE_0
	v_fma_f16 v42, v42, 2.0, -v36
	v_fma_f16 v43, v55, 2.0, -v38
	v_pack_b32_f16 v42, v43, v42
	v_pack_b32_f16 v36, v38, v36
	v_add_lshl_u32 v52, v25, v41, 2
	ds_write2_b32 v52, v42, v36 offset1:7
	v_lshrrev_b32_e32 v36, 16, v75
	s_waitcnt vmcnt(0)
	v_mul_f16_sdwa v38, v36, v28 dst_sel:DWORD dst_unused:UNUSED_PAD src0_sel:DWORD src1_sel:WORD_1
	v_mul_f16_sdwa v41, v75, v28 dst_sel:DWORD dst_unused:UNUSED_PAD src0_sel:DWORD src1_sel:WORD_1
	v_fma_f16 v38, v75, v28, -v38
	v_fma_f16 v36, v36, v28, v41
	v_lshrrev_b32_e32 v41, 16, v56
	v_sub_f16_e32 v38, v56, v38
	v_mul_lo_u16_e32 v43, 14, v73
	v_sub_f16_e32 v36, v41, v36
	v_fma_f16 v42, v56, 2.0, -v38
	v_add_u32_sdwa v43, v43, v74 dst_sel:DWORD dst_unused:UNUSED_PAD src0_sel:DWORD src1_sel:BYTE_0
	v_fma_f16 v41, v41, 2.0, -v36
	v_pack_b32_f16 v41, v42, v41
	v_pack_b32_f16 v36, v38, v36
	v_add_lshl_u32 v53, v25, v43, 2
	ds_write2_b32 v53, v41, v36 offset1:7
	s_waitcnt lgkmcnt(0)
	; wave barrier
	s_waitcnt lgkmcnt(0)
	global_load_dword v41, v[34:35], off offset:28
	v_lshrrev_b16_e32 v57, 9, v32
	v_mul_lo_u16_e32 v32, 14, v57
	v_sub_u16_e32 v58, v2, v32
	v_lshlrev_b32_sdwa v32, v5, v58 dst_sel:DWORD dst_unused:UNUSED_PAD src0_sel:DWORD src1_sel:BYTE_0
	v_cndmask_b32_e64 v35, 0, 28, vcc
	global_load_dword v36, v32, s[2:3] offset:28
	v_add_u32_e32 v56, v33, v35
	v_mul_lo_u16_e32 v33, 14, v76
	v_sub_u16_e32 v77, v67, v33
	v_mul_lo_u16_e32 v33, 14, v78
	v_sub_u16_e32 v79, v69, v33
	v_lshlrev_b32_sdwa v33, v5, v77 dst_sel:DWORD dst_unused:UNUSED_PAD src0_sel:DWORD src1_sel:BYTE_0
	global_load_dword v33, v33, s[2:3] offset:28
	v_mul_lo_u16_e32 v32, 14, v47
	v_sub_u16_e32 v73, v45, v32
	v_lshlrev_b32_sdwa v32, v5, v73 dst_sel:DWORD dst_unused:UNUSED_PAD src0_sel:DWORD src1_sel:BYTE_0
	global_load_dword v34, v32, s[2:3] offset:28
	v_lshrrev_b16_e32 v74, 9, v66
	v_mul_lo_u16_e32 v32, 14, v74
	v_sub_u16_e32 v75, v4, v32
	v_lshlrev_b32_sdwa v32, v5, v75 dst_sel:DWORD dst_unused:UNUSED_PAD src0_sel:DWORD src1_sel:BYTE_0
	global_load_dword v32, v32, s[2:3] offset:28
	v_mul_lo_u16_e32 v35, 14, v80
	v_sub_u16_e32 v81, v71, v35
	v_lshlrev_b32_sdwa v44, v5, v79 dst_sel:DWORD dst_unused:UNUSED_PAD src0_sel:DWORD src1_sel:BYTE_0
	ds_read2_b32 v[42:43], v17 offset0:112 offset1:128
	v_lshlrev_b32_sdwa v45, v5, v81 dst_sel:DWORD dst_unused:UNUSED_PAD src0_sel:DWORD src1_sel:BYTE_0
	global_load_dword v38, v44, s[2:3] offset:28
	global_load_dword v35, v45, s[2:3] offset:28
	ds_read_b32 v54, v23
	ds_read_b32 v82, v17 offset:832
	s_waitcnt lgkmcnt(2)
	v_lshrrev_b32_e32 v44, 16, v42
	v_add_lshl_u32 v56, v25, v56, 2
	v_mad_legacy_u16 v47, v47, 28, v73
	s_waitcnt vmcnt(6)
	v_mul_f16_sdwa v45, v42, v41 dst_sel:DWORD dst_unused:UNUSED_PAD src0_sel:DWORD src1_sel:WORD_1
	v_fma_f16 v45, v44, v41, v45
	v_mul_f16_sdwa v44, v44, v41 dst_sel:DWORD dst_unused:UNUSED_PAD src0_sel:DWORD src1_sel:WORD_1
	v_fma_f16 v42, v42, v41, -v44
	s_waitcnt lgkmcnt(1)
	v_lshrrev_b32_e32 v44, 16, v54
	v_sub_f16_e32 v42, v54, v42
	v_sub_f16_e32 v45, v44, v45
	v_fma_f16 v54, v54, 2.0, -v42
	v_fma_f16 v44, v44, 2.0, -v45
	v_pack_b32_f16 v83, v54, v44
	v_pack_b32_f16 v42, v42, v45
	ds_read2_b32 v[44:45], v17 offset0:16 offset1:32
	ds_read2_b32 v[54:55], v17 offset0:144 offset1:160
	;; [unrolled: 1-line block ×5, first 2 shown]
	s_waitcnt lgkmcnt(0)
	; wave barrier
	s_waitcnt lgkmcnt(0)
	ds_write2_b32 v56, v83, v42 offset1:14
	v_lshrrev_b32_e32 v42, 16, v43
	s_waitcnt vmcnt(5)
	v_mul_f16_sdwa v83, v42, v36 dst_sel:DWORD dst_unused:UNUSED_PAD src0_sel:DWORD src1_sel:WORD_1
	v_fma_f16 v83, v43, v36, -v83
	v_mul_f16_sdwa v43, v43, v36 dst_sel:DWORD dst_unused:UNUSED_PAD src0_sel:DWORD src1_sel:WORD_1
	v_fma_f16 v42, v42, v36, v43
	v_mad_legacy_u16 v43, v57, 28, v58
	v_lshrrev_b32_e32 v58, 16, v44
	v_sub_f16_e32 v57, v44, v83
	v_sub_f16_e32 v42, v58, v42
	v_fma_f16 v58, v58, 2.0, -v42
	v_fma_f16 v44, v44, 2.0, -v57
	v_and_b32_e32 v43, 0xff, v43
	v_pack_b32_f16 v44, v44, v58
	v_pack_b32_f16 v42, v57, v42
	v_add_lshl_u32 v57, v25, v43, 2
	ds_write2_b32 v57, v44, v42 offset1:14
	v_lshrrev_b32_e32 v42, 16, v54
	s_waitcnt vmcnt(3)
	v_mul_f16_sdwa v43, v54, v34 dst_sel:DWORD dst_unused:UNUSED_PAD src0_sel:DWORD src1_sel:WORD_1
	v_fma_f16 v43, v42, v34, v43
	v_mul_f16_sdwa v42, v42, v34 dst_sel:DWORD dst_unused:UNUSED_PAD src0_sel:DWORD src1_sel:WORD_1
	v_fma_f16 v42, v54, v34, -v42
	v_lshrrev_b32_e32 v44, 16, v45
	v_sub_f16_e32 v42, v45, v42
	v_sub_f16_e32 v43, v44, v43
	v_fma_f16 v45, v45, 2.0, -v42
	v_fma_f16 v44, v44, 2.0, -v43
	v_pack_b32_f16 v42, v42, v43
	v_and_b32_e32 v43, 0xff, v47
	v_pack_b32_f16 v44, v45, v44
	v_add_lshl_u32 v58, v25, v43, 2
	ds_write2_b32 v58, v44, v42 offset1:14
	v_lshrrev_b32_e32 v42, 16, v55
	s_waitcnt vmcnt(2)
	v_mul_f16_sdwa v43, v42, v32 dst_sel:DWORD dst_unused:UNUSED_PAD src0_sel:DWORD src1_sel:WORD_1
	v_mul_f16_sdwa v44, v55, v32 dst_sel:DWORD dst_unused:UNUSED_PAD src0_sel:DWORD src1_sel:WORD_1
	v_fma_f16 v43, v55, v32, -v43
	v_fma_f16 v42, v42, v32, v44
	v_lshrrev_b32_e32 v45, 16, v59
	v_mad_legacy_u16 v44, v74, 28, v75
	v_sub_f16_e32 v43, v59, v43
	v_sub_f16_e32 v42, v45, v42
	v_fma_f16 v45, v45, 2.0, -v42
	v_fma_f16 v47, v59, 2.0, -v43
	v_pack_b32_f16 v42, v43, v42
	v_and_b32_e32 v43, 0xff, v44
	v_pack_b32_f16 v45, v47, v45
	v_add_lshl_u32 v59, v25, v43, 2
	ds_write2_b32 v59, v45, v42 offset1:14
	v_lshrrev_b32_e32 v42, 16, v61
	v_mul_f16_sdwa v43, v61, v33 dst_sel:DWORD dst_unused:UNUSED_PAD src0_sel:DWORD src1_sel:WORD_1
	v_fma_f16 v43, v42, v33, v43
	v_mul_f16_sdwa v42, v42, v33 dst_sel:DWORD dst_unused:UNUSED_PAD src0_sel:DWORD src1_sel:WORD_1
	v_fma_f16 v42, v61, v33, -v42
	v_lshrrev_b32_e32 v44, 16, v60
	v_sub_f16_e32 v42, v60, v42
	v_mul_lo_u16_e32 v47, 28, v76
	v_sub_f16_e32 v43, v44, v43
	v_fma_f16 v45, v60, 2.0, -v42
	v_add_u32_sdwa v47, v47, v77 dst_sel:DWORD dst_unused:UNUSED_PAD src0_sel:DWORD src1_sel:BYTE_0
	v_fma_f16 v44, v44, 2.0, -v43
	v_pack_b32_f16 v44, v45, v44
	v_pack_b32_f16 v42, v42, v43
	v_add_lshl_u32 v60, v25, v47, 2
	ds_write2_b32 v60, v44, v42 offset1:14
	v_lshrrev_b32_e32 v42, 16, v62
	s_waitcnt vmcnt(1)
	v_mul_f16_sdwa v43, v42, v38 dst_sel:DWORD dst_unused:UNUSED_PAD src0_sel:DWORD src1_sel:WORD_1
	v_mul_f16_sdwa v44, v62, v38 dst_sel:DWORD dst_unused:UNUSED_PAD src0_sel:DWORD src1_sel:WORD_1
	v_fma_f16 v43, v62, v38, -v43
	v_fma_f16 v42, v42, v38, v44
	v_lshrrev_b32_e32 v45, 16, v64
	v_mul_lo_u16_e32 v44, 28, v78
	v_sub_f16_e32 v43, v64, v43
	v_sub_f16_e32 v42, v45, v42
	v_add_u32_sdwa v44, v44, v79 dst_sel:DWORD dst_unused:UNUSED_PAD src0_sel:DWORD src1_sel:BYTE_0
	v_fma_f16 v45, v45, 2.0, -v42
	v_fma_f16 v47, v64, 2.0, -v43
	v_pack_b32_f16 v45, v47, v45
	v_pack_b32_f16 v42, v43, v42
	v_add_lshl_u32 v61, v25, v44, 2
	ds_write2_b32 v61, v45, v42 offset1:14
	v_lshrrev_b32_e32 v42, 16, v82
	s_waitcnt vmcnt(0)
	v_mul_f16_sdwa v43, v42, v35 dst_sel:DWORD dst_unused:UNUSED_PAD src0_sel:DWORD src1_sel:WORD_1
	v_mul_f16_sdwa v44, v82, v35 dst_sel:DWORD dst_unused:UNUSED_PAD src0_sel:DWORD src1_sel:WORD_1
	v_fma_f16 v43, v82, v35, -v43
	v_fma_f16 v42, v42, v35, v44
	v_lshrrev_b32_e32 v44, 16, v65
	v_sub_f16_e32 v43, v65, v43
	v_mul_lo_u16_e32 v47, 28, v80
	v_sub_f16_e32 v42, v44, v42
	v_fma_f16 v45, v65, 2.0, -v43
	v_add_u32_sdwa v47, v47, v81 dst_sel:DWORD dst_unused:UNUSED_PAD src0_sel:DWORD src1_sel:BYTE_0
	v_fma_f16 v44, v44, 2.0, -v42
	v_pack_b32_f16 v44, v45, v44
	v_pack_b32_f16 v42, v43, v42
	v_add_lshl_u32 v62, v25, v47, 2
	ds_write2_b32 v62, v44, v42 offset1:14
	s_waitcnt lgkmcnt(0)
	; wave barrier
	s_waitcnt lgkmcnt(0)
	global_load_dword v55, v24, s[2:3] offset:84
	v_add_co_u32_e32 v42, vcc, -12, v18
	v_addc_co_u32_e64 v43, s[16:17], 0, -1, vcc
	v_cmp_gt_u64_e32 vcc, 28, v[2:3]
	v_lshrrev_b16_e32 v77, 10, v66
	v_cndmask_b32_e32 v64, v42, v2, vcc
	v_cndmask_b32_e64 v65, v43, 0, vcc
	v_lshlrev_b64 v[42:43], 2, v[64:65]
	v_lshrrev_b16_e32 v79, 12, v70
	v_add_co_u32_e32 v44, vcc, s2, v42
	v_addc_co_u32_e32 v45, vcc, v63, v43, vcc
	global_load_dword v54, v[44:45], off offset:84
	global_load_dword v43, v24, s[2:3] offset:100
	v_mul_lo_u16_e32 v42, 28, v77
	v_sub_u16_e32 v78, v4, v42
	v_lshlrev_b32_sdwa v42, v5, v78 dst_sel:DWORD dst_unused:UNUSED_PAD src0_sel:DWORD src1_sel:BYTE_0
	global_load_dword v47, v42, s[2:3] offset:84
	v_lshrrev_b16_e32 v42, 12, v68
	v_mul_lo_u16_e32 v42, 28, v42
	v_sub_u16_e32 v42, v67, v42
	v_and_b32_e32 v80, 0xff, v42
	v_lshlrev_b32_e32 v42, 2, v80
	global_load_dword v44, v42, s[2:3] offset:84
	ds_read2_b32 v[65:66], v17 offset0:112 offset1:128
	v_mul_lo_u16_e32 v45, 28, v79
	v_sub_u16_e32 v81, v69, v45
	v_lshlrev_b32_sdwa v5, v5, v81 dst_sel:DWORD dst_unused:UNUSED_PAD src0_sel:DWORD src1_sel:BYTE_0
	v_lshrrev_b16_e32 v42, 12, v72
	s_waitcnt lgkmcnt(0)
	v_lshrrev_b32_e32 v45, 16, v65
	v_mul_lo_u16_e32 v42, 28, v42
	v_sub_u16_e32 v42, v71, v42
	v_and_b32_e32 v83, 0xff, v42
	v_lshlrev_b32_e32 v42, 2, v83
	global_load_dword v42, v42, s[2:3] offset:84
	ds_read_b32 v68, v23
	ds_read_b32 v82, v17 offset:832
	v_cmp_lt_u64_e32 vcc, 27, v[2:3]
	v_cndmask_b32_e64 v2, 0, 56, vcc
	v_add_u32_e32 v2, v2, v64
	s_waitcnt vmcnt(5)
	v_mul_f16_sdwa v67, v65, v55 dst_sel:DWORD dst_unused:UNUSED_PAD src0_sel:DWORD src1_sel:WORD_1
	v_fma_f16 v67, v45, v55, v67
	v_mul_f16_sdwa v45, v45, v55 dst_sel:DWORD dst_unused:UNUSED_PAD src0_sel:DWORD src1_sel:WORD_1
	v_fma_f16 v65, v65, v55, -v45
	global_load_dword v45, v5, s[2:3] offset:84
	s_waitcnt lgkmcnt(1)
	v_sub_f16_e32 v5, v68, v65
	v_lshrrev_b32_e32 v65, 16, v68
	v_sub_f16_e32 v67, v65, v67
	v_fma_f16 v68, v68, 2.0, -v5
	v_fma_f16 v65, v65, 2.0, -v67
	v_pack_b32_f16 v65, v68, v65
	v_pack_b32_f16 v5, v5, v67
	ds_read2_b32 v[67:68], v17 offset0:16 offset1:32
	ds_read2_b32 v[69:70], v17 offset0:144 offset1:160
	;; [unrolled: 1-line block ×5, first 2 shown]
	s_waitcnt lgkmcnt(0)
	; wave barrier
	s_waitcnt lgkmcnt(0)
	ds_write2_b32 v23, v65, v5 offset1:28
	v_lshrrev_b32_e32 v5, 16, v66
	s_waitcnt vmcnt(5)
	v_mul_f16_sdwa v64, v5, v54 dst_sel:DWORD dst_unused:UNUSED_PAD src0_sel:DWORD src1_sel:WORD_1
	v_mul_f16_sdwa v65, v66, v54 dst_sel:DWORD dst_unused:UNUSED_PAD src0_sel:DWORD src1_sel:WORD_1
	v_fma_f16 v64, v66, v54, -v64
	v_fma_f16 v5, v5, v54, v65
	v_lshrrev_b32_e32 v65, 16, v67
	v_sub_f16_e32 v64, v67, v64
	v_sub_f16_e32 v5, v65, v5
	v_fma_f16 v65, v65, 2.0, -v5
	v_fma_f16 v66, v67, 2.0, -v64
	v_pack_b32_f16 v65, v66, v65
	v_pack_b32_f16 v5, v64, v5
	v_add_lshl_u32 v64, v25, v2, 2
	ds_write2_b32 v64, v65, v5 offset1:28
	v_lshrrev_b32_e32 v2, 16, v69
	s_waitcnt vmcnt(4)
	v_mul_f16_sdwa v5, v69, v43 dst_sel:DWORD dst_unused:UNUSED_PAD src0_sel:DWORD src1_sel:WORD_1
	v_fma_f16 v5, v2, v43, v5
	v_mul_f16_sdwa v2, v2, v43 dst_sel:DWORD dst_unused:UNUSED_PAD src0_sel:DWORD src1_sel:WORD_1
	v_fma_f16 v2, v69, v43, -v2
	v_lshrrev_b32_e32 v65, 16, v68
	v_sub_f16_e32 v2, v68, v2
	v_sub_f16_e32 v5, v65, v5
	v_fma_f16 v66, v68, 2.0, -v2
	v_fma_f16 v65, v65, 2.0, -v5
	v_pack_b32_f16 v65, v66, v65
	v_pack_b32_f16 v2, v2, v5
	ds_write2_b32 v23, v65, v2 offset0:60 offset1:88
	v_lshrrev_b32_e32 v2, 16, v70
	s_waitcnt vmcnt(3)
	v_mul_f16_sdwa v5, v2, v47 dst_sel:DWORD dst_unused:UNUSED_PAD src0_sel:DWORD src1_sel:WORD_1
	v_mul_f16_sdwa v65, v70, v47 dst_sel:DWORD dst_unused:UNUSED_PAD src0_sel:DWORD src1_sel:WORD_1
	v_fma_f16 v5, v70, v47, -v5
	v_fma_f16 v2, v2, v47, v65
	v_lshrrev_b32_e32 v66, 16, v71
	v_mad_legacy_u16 v65, v77, 56, v78
	v_sub_f16_e32 v5, v71, v5
	v_sub_f16_e32 v2, v66, v2
	v_fma_f16 v66, v66, 2.0, -v2
	v_fma_f16 v67, v71, 2.0, -v5
	v_pack_b32_f16 v2, v5, v2
	v_and_b32_e32 v5, 0xff, v65
	v_pack_b32_f16 v66, v67, v66
	v_add_lshl_u32 v65, v25, v5, 2
	ds_write2_b32 v65, v66, v2 offset1:28
	v_lshrrev_b32_e32 v2, 16, v73
	s_waitcnt vmcnt(2)
	v_mul_f16_sdwa v5, v73, v44 dst_sel:DWORD dst_unused:UNUSED_PAD src0_sel:DWORD src1_sel:WORD_1
	v_fma_f16 v5, v2, v44, v5
	v_mul_f16_sdwa v2, v2, v44 dst_sel:DWORD dst_unused:UNUSED_PAD src0_sel:DWORD src1_sel:WORD_1
	v_fma_f16 v2, v73, v44, -v2
	v_lshrrev_b32_e32 v66, 16, v72
	v_sub_f16_e32 v2, v72, v2
	v_sub_f16_e32 v5, v66, v5
	v_fma_f16 v67, v72, 2.0, -v2
	v_fma_f16 v66, v66, 2.0, -v5
	v_pack_b32_f16 v67, v67, v66
	v_pack_b32_f16 v2, v2, v5
	v_add_lshl_u32 v66, v25, v80, 2
	ds_write2_b32 v66, v67, v2 offset0:112 offset1:140
	v_lshrrev_b32_e32 v2, 16, v74
	v_lshrrev_b32_e32 v68, 16, v75
	s_waitcnt vmcnt(0)
	v_mul_f16_sdwa v5, v2, v45 dst_sel:DWORD dst_unused:UNUSED_PAD src0_sel:DWORD src1_sel:WORD_1
	v_mul_f16_sdwa v67, v74, v45 dst_sel:DWORD dst_unused:UNUSED_PAD src0_sel:DWORD src1_sel:WORD_1
	v_fma_f16 v5, v74, v45, -v5
	v_fma_f16 v2, v2, v45, v67
	v_mul_lo_u16_e32 v67, 56, v79
	v_sub_f16_e32 v5, v75, v5
	v_sub_f16_e32 v2, v68, v2
	v_add_u32_sdwa v67, v67, v81 dst_sel:DWORD dst_unused:UNUSED_PAD src0_sel:DWORD src1_sel:BYTE_0
	v_fma_f16 v68, v68, 2.0, -v2
	v_fma_f16 v69, v75, 2.0, -v5
	v_pack_b32_f16 v68, v69, v68
	v_pack_b32_f16 v2, v5, v2
	v_add_lshl_u32 v67, v25, v67, 2
	ds_write2_b32 v67, v68, v2 offset1:28
	v_lshrrev_b32_e32 v2, 16, v82
	v_mul_f16_sdwa v5, v2, v42 dst_sel:DWORD dst_unused:UNUSED_PAD src0_sel:DWORD src1_sel:WORD_1
	v_mul_f16_sdwa v68, v82, v42 dst_sel:DWORD dst_unused:UNUSED_PAD src0_sel:DWORD src1_sel:WORD_1
	v_fma_f16 v5, v82, v42, -v5
	v_fma_f16 v2, v2, v42, v68
	v_lshrrev_b32_e32 v68, 16, v76
	v_sub_f16_e32 v5, v76, v5
	v_sub_f16_e32 v2, v68, v2
	v_fma_f16 v69, v76, 2.0, -v5
	v_fma_f16 v68, v68, 2.0, -v2
	v_pack_b32_f16 v69, v69, v68
	v_pack_b32_f16 v2, v5, v2
	v_add_lshl_u32 v68, v25, v83, 2
	ds_write2_b32 v68, v69, v2 offset0:168 offset1:196
	s_waitcnt lgkmcnt(0)
	; wave barrier
	s_waitcnt lgkmcnt(0)
	global_load_dword v2, v24, s[2:3] offset:196
	v_mov_b32_e32 v5, v3
	v_add_co_u32_e32 v3, vcc, -8, v18
	v_addc_co_u32_e64 v70, s[16:17], 0, -1, vcc
	v_cmp_gt_u64_e32 vcc, 56, v[4:5]
	global_load_dword v76, v24, s[2:3] offset:324
	global_load_dword v77, v24, s[2:3] offset:260
	v_cndmask_b32_e32 v69, v3, v4, vcc
	v_cndmask_b32_e64 v70, v70, 0, vcc
	v_lshlrev_b64 v[70:71], 2, v[69:70]
	v_add_co_u32_e32 v72, vcc, s2, v70
	v_addc_co_u32_e32 v73, vcc, v63, v71, vcc
	global_load_dword v75, v[72:73], off offset:196
	global_load_dword v74, v24, s[2:3] offset:228
	global_load_dword v70, v24, s[2:3] offset:292
	;; [unrolled: 1-line block ×3, first 2 shown]
	ds_read2_b32 v[71:72], v17 offset0:112 offset1:128
	ds_read_b32 v78, v23
	v_cmp_lt_u64_e32 vcc, 55, v[4:5]
	s_waitcnt lgkmcnt(1)
	v_lshrrev_b32_e32 v3, 16, v71
	v_lshrrev_b32_e32 v4, 16, v72
	s_waitcnt vmcnt(6)
	v_mul_f16_sdwa v73, v71, v2 dst_sel:DWORD dst_unused:UNUSED_PAD src0_sel:DWORD src1_sel:WORD_1
	v_fma_f16 v73, v3, v2, v73
	v_mul_f16_sdwa v3, v3, v2 dst_sel:DWORD dst_unused:UNUSED_PAD src0_sel:DWORD src1_sel:WORD_1
	v_fma_f16 v3, v71, v2, -v3
	ds_read_b32 v71, v17 offset:832
	s_waitcnt lgkmcnt(1)
	v_lshrrev_b32_e32 v79, 16, v78
	v_sub_f16_e32 v3, v78, v3
	v_sub_f16_e32 v73, v79, v73
	v_fma_f16 v78, v78, 2.0, -v3
	v_fma_f16 v79, v79, 2.0, -v73
	v_pack_b32_f16 v88, v78, v79
	v_pack_b32_f16 v3, v3, v73
	ds_read2_b32 v[78:79], v17 offset0:16 offset1:32
	ds_read2_b32 v[80:81], v17 offset0:144 offset1:160
	;; [unrolled: 1-line block ×5, first 2 shown]
	s_waitcnt lgkmcnt(0)
	; wave barrier
	s_waitcnt lgkmcnt(0)
	ds_write2_b32 v23, v88, v3 offset1:56
	v_mov_b32_e32 v3, 0x70
	v_cndmask_b32_e32 v3, 0, v3, vcc
	v_add_u32_e32 v3, v3, v69
	s_waitcnt vmcnt(4)
	v_mul_f16_sdwa v5, v4, v77 dst_sel:DWORD dst_unused:UNUSED_PAD src0_sel:DWORD src1_sel:WORD_1
	v_mul_f16_sdwa v69, v72, v77 dst_sel:DWORD dst_unused:UNUSED_PAD src0_sel:DWORD src1_sel:WORD_1
	v_fma_f16 v5, v72, v77, -v5
	v_fma_f16 v4, v4, v77, v69
	v_lshrrev_b32_e32 v69, 16, v80
	v_mul_f16_sdwa v72, v80, v76 dst_sel:DWORD dst_unused:UNUSED_PAD src0_sel:DWORD src1_sel:WORD_1
	v_fma_f16 v72, v69, v76, v72
	v_mul_f16_sdwa v69, v69, v76 dst_sel:DWORD dst_unused:UNUSED_PAD src0_sel:DWORD src1_sel:WORD_1
	v_lshrrev_b32_e32 v73, 16, v81
	v_fma_f16 v69, v80, v76, -v69
	s_waitcnt vmcnt(3)
	v_mul_f16_sdwa v80, v73, v75 dst_sel:DWORD dst_unused:UNUSED_PAD src0_sel:DWORD src1_sel:WORD_1
	v_fma_f16 v80, v81, v75, -v80
	v_mul_f16_sdwa v81, v81, v75 dst_sel:DWORD dst_unused:UNUSED_PAD src0_sel:DWORD src1_sel:WORD_1
	v_fma_f16 v73, v73, v75, v81
	v_lshrrev_b32_e32 v81, 16, v78
	v_sub_f16_e32 v5, v78, v5
	v_sub_f16_e32 v4, v81, v4
	v_fma_f16 v78, v78, 2.0, -v5
	v_fma_f16 v81, v81, 2.0, -v4
	v_lshrrev_b32_e32 v88, 16, v79
	v_pack_b32_f16 v78, v78, v81
	v_pack_b32_f16 v4, v5, v4
	v_sub_f16_e32 v69, v79, v69
	ds_write_b32 v17, v78 offset:64
	ds_write_b32 v23, v4 offset:288
	v_sub_f16_e32 v4, v88, v72
	v_fma_f16 v79, v79, 2.0, -v69
	v_fma_f16 v5, v88, 2.0, -v4
	v_pack_b32_f16 v5, v79, v5
	ds_write_b32 v17, v5 offset:128
	v_pack_b32_f16 v4, v69, v4
	v_lshrrev_b32_e32 v5, 16, v82
	ds_write_b32 v23, v4 offset:352
	v_add_lshl_u32 v3, v25, v3, 2
	v_sub_f16_e32 v4, v82, v80
	v_sub_f16_e32 v25, v5, v73
	v_fma_f16 v5, v5, 2.0, -v25
	v_fma_f16 v69, v82, 2.0, -v4
	v_pack_b32_f16 v5, v69, v5
	v_pack_b32_f16 v4, v4, v25
	ds_write2_b32 v3, v5, v4 offset1:56
	v_lshrrev_b32_e32 v4, 16, v84
	s_waitcnt vmcnt(2)
	v_mul_f16_sdwa v5, v84, v74 dst_sel:DWORD dst_unused:UNUSED_PAD src0_sel:DWORD src1_sel:WORD_1
	v_fma_f16 v5, v4, v74, v5
	v_mul_f16_sdwa v4, v4, v74 dst_sel:DWORD dst_unused:UNUSED_PAD src0_sel:DWORD src1_sel:WORD_1
	v_lshrrev_b32_e32 v25, 16, v85
	s_waitcnt vmcnt(1)
	v_mul_f16_sdwa v72, v85, v70 dst_sel:DWORD dst_unused:UNUSED_PAD src0_sel:DWORD src1_sel:WORD_1
	v_fma_f16 v4, v84, v74, -v4
	v_mul_f16_sdwa v69, v25, v70 dst_sel:DWORD dst_unused:UNUSED_PAD src0_sel:DWORD src1_sel:WORD_1
	v_fma_f16 v25, v25, v70, v72
	v_lshrrev_b32_e32 v72, 16, v83
	v_sub_f16_e32 v4, v83, v4
	v_sub_f16_e32 v5, v72, v5
	v_fma_f16 v73, v83, 2.0, -v4
	v_fma_f16 v72, v72, 2.0, -v5
	v_fma_f16 v69, v85, v70, -v69
	v_pack_b32_f16 v72, v73, v72
	v_lshrrev_b32_e32 v73, 16, v86
	v_sub_f16_e32 v69, v86, v69
	v_sub_f16_e32 v25, v73, v25
	v_fma_f16 v73, v73, 2.0, -v25
	v_fma_f16 v78, v86, 2.0, -v69
	v_pack_b32_f16 v73, v78, v73
	ds_write2_b32 v23, v72, v73 offset0:120 offset1:136
	v_lshrrev_b32_e32 v72, 16, v71
	s_waitcnt vmcnt(0)
	v_mul_f16_sdwa v73, v72, v63 dst_sel:DWORD dst_unused:UNUSED_PAD src0_sel:DWORD src1_sel:WORD_1
	v_fma_f16 v73, v71, v63, -v73
	v_mul_f16_sdwa v71, v71, v63 dst_sel:DWORD dst_unused:UNUSED_PAD src0_sel:DWORD src1_sel:WORD_1
	v_fma_f16 v71, v72, v63, v71
	v_sub_f16_e32 v72, v87, v73
	v_lshrrev_b32_e32 v73, 16, v87
	v_pack_b32_f16 v4, v4, v5
	v_sub_f16_e32 v5, v73, v71
	v_fma_f16 v78, v87, 2.0, -v72
	v_fma_f16 v71, v73, 2.0, -v5
	v_pack_b32_f16 v71, v78, v71
	ds_write2_b32 v23, v71, v4 offset0:152 offset1:176
	v_pack_b32_f16 v4, v69, v25
	v_pack_b32_f16 v5, v72, v5
	ds_write2_b32 v23, v4, v5 offset0:192 offset1:208
	s_waitcnt lgkmcnt(0)
	; wave barrier
	s_waitcnt lgkmcnt(0)
	global_load_dword v72, v24, s[2:3] offset:420
	global_load_dword v71, v24, s[2:3] offset:484
	;; [unrolled: 1-line block ×7, first 2 shown]
	ds_read2_b32 v[78:79], v17 offset0:112 offset1:128
	ds_read_b32 v83, v23
	ds_read_b32 v90, v17 offset:832
	s_movk_i32 s3, 0x3846
	s_mov_b32 s2, 0xb70e
	s_waitcnt lgkmcnt(2)
	v_lshrrev_b32_e32 v80, 16, v78
	s_waitcnt vmcnt(6)
	v_mul_f16_sdwa v81, v78, v72 dst_sel:DWORD dst_unused:UNUSED_PAD src0_sel:DWORD src1_sel:WORD_1
	v_fma_f16 v81, v80, v72, v81
	v_mul_f16_sdwa v80, v80, v72 dst_sel:DWORD dst_unused:UNUSED_PAD src0_sel:DWORD src1_sel:WORD_1
	v_fma_f16 v78, v78, v72, -v80
	v_lshrrev_b32_e32 v80, 16, v79
	s_waitcnt vmcnt(5)
	v_mul_f16_sdwa v82, v80, v71 dst_sel:DWORD dst_unused:UNUSED_PAD src0_sel:DWORD src1_sel:WORD_1
	s_waitcnt lgkmcnt(1)
	v_sub_f16_e32 v91, v83, v78
	v_lshrrev_b32_e32 v78, 16, v83
	v_fma_f16 v88, v79, v71, -v82
	v_mul_f16_sdwa v79, v79, v71 dst_sel:DWORD dst_unused:UNUSED_PAD src0_sel:DWORD src1_sel:WORD_1
	v_sub_f16_e32 v92, v78, v81
	v_fma_f16 v89, v80, v71, v79
	v_fma_f16 v79, v83, 2.0, -v91
	v_fma_f16 v78, v78, 2.0, -v92
	v_pack_b32_f16 v93, v79, v78
	ds_read2_b32 v[78:79], v17 offset0:16 offset1:32
	ds_read2_b32 v[80:81], v17 offset0:144 offset1:160
	ds_read2_b32 v[82:83], v17 offset0:48 offset1:64
	ds_read2_b32 v[84:85], v17 offset0:176 offset1:192
	ds_read2_b32 v[86:87], v17 offset0:80 offset1:96
	v_pack_b32_f16 v91, v91, v92
	s_waitcnt lgkmcnt(4)
	v_lshrrev_b32_e32 v92, 16, v78
	v_sub_f16_e32 v88, v78, v88
	v_sub_f16_e32 v89, v92, v89
	ds_write_b32 v23, v93
	v_pack_b32_f16 v93, v88, v89
	ds_write2_b32 v17, v91, v93 offset0:112 offset1:128
	v_fma_f16 v89, v92, 2.0, -v89
	s_waitcnt lgkmcnt(5)
	v_lshrrev_b32_e32 v91, 16, v80
	s_waitcnt vmcnt(4)
	v_mul_f16_sdwa v92, v80, v69 dst_sel:DWORD dst_unused:UNUSED_PAD src0_sel:DWORD src1_sel:WORD_1
	v_fma_f16 v92, v91, v69, v92
	v_mul_f16_sdwa v91, v91, v69 dst_sel:DWORD dst_unused:UNUSED_PAD src0_sel:DWORD src1_sel:WORD_1
	v_fma_f16 v80, v80, v69, -v91
	v_fma_f16 v78, v78, 2.0, -v88
	v_lshrrev_b32_e32 v88, 16, v79
	v_sub_f16_e32 v80, v79, v80
	v_pack_b32_f16 v78, v78, v89
	v_sub_f16_e32 v89, v88, v92
	v_fma_f16 v79, v79, 2.0, -v80
	v_fma_f16 v88, v88, 2.0, -v89
	v_pack_b32_f16 v79, v79, v88
	ds_write2_b32 v17, v78, v79 offset0:16 offset1:32
	v_lshrrev_b32_e32 v78, 16, v81
	s_waitcnt vmcnt(3)
	v_mul_f16_sdwa v79, v78, v25 dst_sel:DWORD dst_unused:UNUSED_PAD src0_sel:DWORD src1_sel:WORD_1
	v_fma_f16 v79, v81, v25, -v79
	v_mul_f16_sdwa v81, v81, v25 dst_sel:DWORD dst_unused:UNUSED_PAD src0_sel:DWORD src1_sel:WORD_1
	v_fma_f16 v78, v78, v25, v81
	s_waitcnt lgkmcnt(5)
	v_lshrrev_b32_e32 v81, 16, v82
	v_sub_f16_e32 v79, v82, v79
	v_sub_f16_e32 v78, v81, v78
	v_pack_b32_f16 v80, v80, v89
	v_pack_b32_f16 v88, v79, v78
	ds_write2_b32 v17, v80, v88 offset0:144 offset1:160
	v_fma_f16 v78, v81, 2.0, -v78
	s_waitcnt lgkmcnt(5)
	v_lshrrev_b32_e32 v80, 16, v84
	s_waitcnt vmcnt(2)
	v_mul_f16_sdwa v81, v84, v5 dst_sel:DWORD dst_unused:UNUSED_PAD src0_sel:DWORD src1_sel:WORD_1
	v_fma_f16 v81, v80, v5, v81
	v_mul_f16_sdwa v80, v80, v5 dst_sel:DWORD dst_unused:UNUSED_PAD src0_sel:DWORD src1_sel:WORD_1
	v_fma_f16 v80, v84, v5, -v80
	v_fma_f16 v79, v82, 2.0, -v79
	v_lshrrev_b32_e32 v82, 16, v83
	v_sub_f16_e32 v80, v83, v80
	v_pack_b32_f16 v78, v79, v78
	v_sub_f16_e32 v79, v82, v81
	v_fma_f16 v83, v83, 2.0, -v80
	v_fma_f16 v81, v82, 2.0, -v79
	v_pack_b32_f16 v81, v83, v81
	ds_write2_b32 v17, v78, v81 offset0:48 offset1:64
	v_lshrrev_b32_e32 v78, 16, v85
	s_waitcnt vmcnt(1)
	v_mul_f16_sdwa v81, v78, v4 dst_sel:DWORD dst_unused:UNUSED_PAD src0_sel:DWORD src1_sel:WORD_1
	v_fma_f16 v81, v85, v4, -v81
	v_mul_f16_sdwa v82, v85, v4 dst_sel:DWORD dst_unused:UNUSED_PAD src0_sel:DWORD src1_sel:WORD_1
	v_fma_f16 v78, v78, v4, v82
	v_pack_b32_f16 v79, v80, v79
	s_waitcnt lgkmcnt(5)
	v_sub_f16_e32 v80, v86, v81
	v_lshrrev_b32_e32 v81, 16, v86
	v_sub_f16_e32 v78, v81, v78
	v_pack_b32_f16 v82, v80, v78
	ds_write2_b32 v17, v79, v82 offset0:176 offset1:192
	v_lshrrev_b32_e32 v79, 16, v90
	s_waitcnt vmcnt(0)
	v_mul_f16_sdwa v82, v79, v73 dst_sel:DWORD dst_unused:UNUSED_PAD src0_sel:DWORD src1_sel:WORD_1
	v_fma_f16 v82, v90, v73, -v82
	v_mul_f16_sdwa v83, v90, v73 dst_sel:DWORD dst_unused:UNUSED_PAD src0_sel:DWORD src1_sel:WORD_1
	v_fma_f16 v79, v79, v73, v83
	v_fma_f16 v78, v81, 2.0, -v78
	v_sub_f16_e32 v81, v87, v82
	v_lshrrev_b32_e32 v82, 16, v87
	v_fma_f16 v80, v86, 2.0, -v80
	v_sub_f16_e32 v79, v82, v79
	v_fma_f16 v83, v87, 2.0, -v81
	v_pack_b32_f16 v78, v80, v78
	v_fma_f16 v80, v82, 2.0, -v79
	v_pack_b32_f16 v80, v83, v80
	ds_write2_b32 v17, v78, v80 offset0:80 offset1:96
	v_pack_b32_f16 v78, v81, v79
	ds_write_b32 v17, v78 offset:832
	s_waitcnt lgkmcnt(0)
	; wave barrier
	s_waitcnt lgkmcnt(0)
	global_load_dword v78, v24, s[0:1] offset:896
	global_load_dword v80, v24, s[6:7] offset:128
	global_load_dword v81, v24, s[6:7] offset:192
	global_load_dword v82, v24, s[6:7] offset:512
	global_load_dword v83, v24, s[6:7] offset:384
	global_load_dword v84, v24, s[6:7] offset:256
	global_load_dword v85, v24, s[6:7] offset:64
	global_load_dword v86, v24, s[6:7] offset:320
	global_load_dword v87, v24, s[6:7] offset:448
	global_load_dword v88, v24, s[6:7] offset:640
	global_load_dword v89, v24, s[6:7] offset:704
	global_load_dword v90, v24, s[6:7] offset:768
	global_load_dword v91, v24, s[6:7] offset:576
	ds_read_b32 v79, v23
	global_load_dword v24, v24, s[6:7] offset:832
	s_mov_b32 s1, 0xbb00
	s_mov_b32 s0, 0xb574
	s_movk_i32 s6, 0x1ff
	s_waitcnt lgkmcnt(0)
	v_lshrrev_b32_e32 v92, 16, v79
	s_movk_i32 s7, 0xffe
	s_waitcnt vmcnt(13)
	v_mul_f16_sdwa v93, v92, v78 dst_sel:DWORD dst_unused:UNUSED_PAD src0_sel:DWORD src1_sel:WORD_1
	v_fma_f16 v93, v79, v78, -v93
	v_mul_f16_sdwa v79, v79, v78 dst_sel:DWORD dst_unused:UNUSED_PAD src0_sel:DWORD src1_sel:WORD_1
	v_fma_f16 v78, v92, v78, v79
	v_pack_b32_f16 v78, v93, v78
	ds_write_b32 v23, v78
	ds_read2_b32 v[78:79], v17 offset0:16 offset1:32
	s_waitcnt lgkmcnt(0)
	v_lshrrev_b32_e32 v92, 16, v79
	s_waitcnt vmcnt(12)
	v_mul_f16_sdwa v93, v79, v80 dst_sel:DWORD dst_unused:UNUSED_PAD src0_sel:DWORD src1_sel:WORD_1
	v_fma_f16 v93, v92, v80, v93
	v_mul_f16_sdwa v92, v92, v80 dst_sel:DWORD dst_unused:UNUSED_PAD src0_sel:DWORD src1_sel:WORD_1
	v_fma_f16 v80, v79, v80, -v92
	v_lshrrev_b32_e32 v92, 16, v78
	s_waitcnt vmcnt(7)
	v_mul_f16_sdwa v79, v92, v85 dst_sel:DWORD dst_unused:UNUSED_PAD src0_sel:DWORD src1_sel:WORD_1
	v_fma_f16 v94, v78, v85, -v79
	v_mul_f16_sdwa v95, v78, v85 dst_sel:DWORD dst_unused:UNUSED_PAD src0_sel:DWORD src1_sel:WORD_1
	ds_read2_b32 v[78:79], v17 offset0:48 offset1:64
	v_fma_f16 v85, v92, v85, v95
	v_pack_b32_f16 v80, v80, v93
	v_pack_b32_f16 v85, v94, v85
	ds_write2_b32 v17, v85, v80 offset0:16 offset1:32
	s_waitcnt lgkmcnt(1)
	v_lshrrev_b32_e32 v80, 16, v79
	v_mul_f16_sdwa v85, v79, v84 dst_sel:DWORD dst_unused:UNUSED_PAD src0_sel:DWORD src1_sel:WORD_1
	v_fma_f16 v85, v80, v84, v85
	v_mul_f16_sdwa v80, v80, v84 dst_sel:DWORD dst_unused:UNUSED_PAD src0_sel:DWORD src1_sel:WORD_1
	v_fma_f16 v80, v79, v84, -v80
	v_lshrrev_b32_e32 v84, 16, v78
	v_mul_f16_sdwa v79, v84, v81 dst_sel:DWORD dst_unused:UNUSED_PAD src0_sel:DWORD src1_sel:WORD_1
	v_fma_f16 v92, v78, v81, -v79
	v_mul_f16_sdwa v93, v78, v81 dst_sel:DWORD dst_unused:UNUSED_PAD src0_sel:DWORD src1_sel:WORD_1
	ds_read2_b32 v[78:79], v17 offset0:80 offset1:96
	v_fma_f16 v81, v84, v81, v93
	v_pack_b32_f16 v80, v80, v85
	v_pack_b32_f16 v81, v92, v81
	ds_write2_b32 v17, v81, v80 offset0:48 offset1:64
	s_waitcnt lgkmcnt(1)
	v_lshrrev_b32_e32 v80, 16, v79
	v_mul_f16_sdwa v81, v79, v83 dst_sel:DWORD dst_unused:UNUSED_PAD src0_sel:DWORD src1_sel:WORD_1
	v_fma_f16 v81, v80, v83, v81
	v_mul_f16_sdwa v80, v80, v83 dst_sel:DWORD dst_unused:UNUSED_PAD src0_sel:DWORD src1_sel:WORD_1
	v_fma_f16 v80, v79, v83, -v80
	v_lshrrev_b32_e32 v83, 16, v78
	s_waitcnt vmcnt(6)
	v_mul_f16_sdwa v79, v83, v86 dst_sel:DWORD dst_unused:UNUSED_PAD src0_sel:DWORD src1_sel:WORD_1
	v_fma_f16 v84, v78, v86, -v79
	v_mul_f16_sdwa v85, v78, v86 dst_sel:DWORD dst_unused:UNUSED_PAD src0_sel:DWORD src1_sel:WORD_1
	ds_read2_b32 v[78:79], v17 offset0:112 offset1:128
	v_fma_f16 v83, v83, v86, v85
	v_pack_b32_f16 v80, v80, v81
	v_pack_b32_f16 v81, v84, v83
	ds_write2_b32 v17, v81, v80 offset0:80 offset1:96
	s_waitcnt lgkmcnt(1)
	v_lshrrev_b32_e32 v80, 16, v79
	v_mul_f16_sdwa v81, v79, v82 dst_sel:DWORD dst_unused:UNUSED_PAD src0_sel:DWORD src1_sel:WORD_1
	v_fma_f16 v81, v80, v82, v81
	v_mul_f16_sdwa v80, v80, v82 dst_sel:DWORD dst_unused:UNUSED_PAD src0_sel:DWORD src1_sel:WORD_1
	v_fma_f16 v80, v79, v82, -v80
	v_lshrrev_b32_e32 v82, 16, v78
	s_waitcnt vmcnt(5)
	v_mul_f16_sdwa v79, v82, v87 dst_sel:DWORD dst_unused:UNUSED_PAD src0_sel:DWORD src1_sel:WORD_1
	v_fma_f16 v83, v78, v87, -v79
	v_mul_f16_sdwa v84, v78, v87 dst_sel:DWORD dst_unused:UNUSED_PAD src0_sel:DWORD src1_sel:WORD_1
	ds_read2_b32 v[78:79], v17 offset0:144 offset1:160
	v_fma_f16 v82, v82, v87, v84
	v_pack_b32_f16 v80, v80, v81
	v_pack_b32_f16 v81, v83, v82
	ds_write2_b32 v17, v81, v80 offset0:112 offset1:128
	s_waitcnt lgkmcnt(1)
	v_lshrrev_b32_e32 v80, 16, v79
	s_waitcnt vmcnt(4)
	v_mul_f16_sdwa v81, v79, v88 dst_sel:DWORD dst_unused:UNUSED_PAD src0_sel:DWORD src1_sel:WORD_1
	v_fma_f16 v81, v80, v88, v81
	v_mul_f16_sdwa v80, v80, v88 dst_sel:DWORD dst_unused:UNUSED_PAD src0_sel:DWORD src1_sel:WORD_1
	v_lshrrev_b32_e32 v82, 16, v78
	v_fma_f16 v80, v79, v88, -v80
	s_waitcnt vmcnt(1)
	v_mul_f16_sdwa v79, v82, v91 dst_sel:DWORD dst_unused:UNUSED_PAD src0_sel:DWORD src1_sel:WORD_1
	v_fma_f16 v83, v78, v91, -v79
	v_mul_f16_sdwa v84, v78, v91 dst_sel:DWORD dst_unused:UNUSED_PAD src0_sel:DWORD src1_sel:WORD_1
	ds_read2_b32 v[78:79], v17 offset0:176 offset1:192
	v_fma_f16 v82, v82, v91, v84
	v_pack_b32_f16 v80, v80, v81
	v_pack_b32_f16 v81, v83, v82
	ds_write2_b32 v17, v81, v80 offset0:144 offset1:160
	s_waitcnt lgkmcnt(1)
	v_lshrrev_b32_e32 v80, 16, v79
	v_mul_f16_sdwa v81, v79, v90 dst_sel:DWORD dst_unused:UNUSED_PAD src0_sel:DWORD src1_sel:WORD_1
	v_fma_f16 v81, v80, v90, v81
	v_mul_f16_sdwa v80, v80, v90 dst_sel:DWORD dst_unused:UNUSED_PAD src0_sel:DWORD src1_sel:WORD_1
	v_fma_f16 v79, v79, v90, -v80
	v_lshrrev_b32_e32 v80, 16, v78
	ds_read_b32 v83, v17 offset:832
	v_mul_f16_sdwa v82, v80, v89 dst_sel:DWORD dst_unused:UNUSED_PAD src0_sel:DWORD src1_sel:WORD_1
	v_fma_f16 v82, v78, v89, -v82
	v_mul_f16_sdwa v78, v78, v89 dst_sel:DWORD dst_unused:UNUSED_PAD src0_sel:DWORD src1_sel:WORD_1
	v_fma_f16 v78, v80, v89, v78
	v_pack_b32_f16 v79, v79, v81
	v_pack_b32_f16 v78, v82, v78
	ds_write2_b32 v17, v78, v79 offset0:176 offset1:192
	s_waitcnt lgkmcnt(1)
	v_lshrrev_b32_e32 v78, 16, v83
	s_waitcnt vmcnt(0)
	v_mul_f16_sdwa v79, v78, v24 dst_sel:DWORD dst_unused:UNUSED_PAD src0_sel:DWORD src1_sel:WORD_1
	v_mul_f16_sdwa v80, v83, v24 dst_sel:DWORD dst_unused:UNUSED_PAD src0_sel:DWORD src1_sel:WORD_1
	v_fma_f16 v79, v83, v24, -v79
	v_fma_f16 v24, v78, v24, v80
	v_pack_b32_f16 v24, v79, v24
	ds_write_b32 v17, v24 offset:832
	s_waitcnt lgkmcnt(0)
	; wave barrier
	s_waitcnt lgkmcnt(0)
	ds_read2_b32 v[78:79], v17 offset0:16 offset1:32
	ds_read2_b32 v[80:81], v17 offset0:176 offset1:192
	;; [unrolled: 1-line block ×5, first 2 shown]
	ds_read_b32 v90, v23
	ds_read_b32 v91, v17 offset:832
	s_waitcnt lgkmcnt(5)
	v_pk_add_f16 v24, v79, v81
	v_pk_add_f16 v81, v79, v81 neg_lo:[0,1] neg_hi:[0,1]
	s_waitcnt lgkmcnt(4)
	v_pk_add_f16 v88, v82, v80
	v_pk_add_f16 v82, v82, v80 neg_lo:[0,1] neg_hi:[0,1]
	ds_read2_b32 v[79:80], v17 offset0:48 offset1:64
	s_waitcnt lgkmcnt(4)
	v_pk_add_f16 v89, v83, v85
	v_pk_add_f16 v83, v85, v83 neg_lo:[0,1] neg_hi:[0,1]
	s_waitcnt lgkmcnt(3)
	v_pk_add_f16 v85, v84, v86
	v_pk_add_f16 v84, v86, v84 neg_lo:[0,1] neg_hi:[0,1]
	;; [unrolled: 3-line block ×3, first 2 shown]
	v_pk_add_f16 v87, v86, v24
	v_pk_add_f16 v93, v83, v80
	;; [unrolled: 1-line block ×3, first 2 shown]
	v_pk_add_f16 v92, v86, v24 neg_lo:[0,1] neg_hi:[0,1]
	v_pk_add_f16 v24, v24, v89 neg_lo:[0,1] neg_hi:[0,1]
	v_pk_add_f16 v93, v93, v81
	v_pk_add_f16 v94, v81, v83 neg_lo:[0,1] neg_hi:[0,1]
	v_pk_add_f16 v81, v80, v81 neg_lo:[0,1] neg_hi:[0,1]
	v_pk_add_f16 v90, v90, v87
	v_pk_mul_f16 v24, v24, s12 op_sel_hi:[1,0]
	v_pk_mul_f16 v92, v92, s13 op_sel_hi:[1,0]
	;; [unrolled: 1-line block ×3, first 2 shown]
	v_pk_add_f16 v86, v89, v86 neg_lo:[0,1] neg_hi:[0,1]
	v_pk_add_f16 v80, v83, v80 neg_lo:[0,1] neg_hi:[0,1]
	v_pk_fma_f16 v87, v87, s14, v90 op_sel_hi:[1,0,1] neg_lo:[1,0,0] neg_hi:[1,0,0]
	v_pk_add_f16 v95, v24, v92 op_sel:[1,1] op_sel_hi:[0,0] neg_lo:[1,1] neg_hi:[1,1]
	v_pk_fma_f16 v96, v94, s0, v81 op_sel_hi:[1,0,1] neg_lo:[1,0,1] neg_hi:[1,0,1]
	v_pk_fma_f16 v83, v86, s10, v92 op_sel_hi:[1,0,1] neg_lo:[1,0,0] neg_hi:[1,0,0]
	;; [unrolled: 1-line block ×3, first 2 shown]
	v_pk_add_f16 v95, v95, v87 op_sel:[0,1] op_sel_hi:[1,0]
	v_pk_fma_f16 v96, v93, s2, v96 op_sel_hi:[1,0,1]
	v_pk_add_f16 v83, v83, v87
	v_pk_fma_f16 v81, v93, s2, v81 op_sel_hi:[1,0,1]
	v_pk_add_f16 v97, v95, v96
	v_pk_add_f16 v95, v95, v96 neg_lo:[0,1] neg_hi:[0,1]
	v_pk_add_f16 v89, v83, v81 op_sel:[0,1] op_sel_hi:[1,0] neg_lo:[0,1] neg_hi:[0,1]
	v_pk_add_f16 v81, v83, v81 op_sel:[0,1] op_sel_hi:[1,0]
	v_alignbit_b32 v83, v95, v97, 16
	v_bfi_b32 v92, s11, v89, v81
	s_waitcnt lgkmcnt(0)
	; wave barrier
	ds_write2_b32 v39, v83, v92 offset0:2 offset1:3
	v_bfi_b32 v81, s11, v81, v89
	v_alignbit_b32 v83, v97, v95, 16
	ds_write2_b32 v39, v81, v83 offset0:4 offset1:5
	v_pk_mul_f16 v81, v94, s0 op_sel_hi:[1,0]
	v_pk_fma_f16 v24, v86, s10, v24 op_sel_hi:[1,0,1]
	v_pk_fma_f16 v80, v80, s3, v81 op_sel_hi:[1,0,1]
	v_pk_add_f16 v24, v24, v87
	v_pk_fma_f16 v80, v93, s2, v80 op_sel_hi:[1,0,1]
	v_pk_add_f16 v81, v24, v80 op_sel:[0,1] op_sel_hi:[1,0]
	v_pk_add_f16 v24, v24, v80 op_sel:[0,1] op_sel_hi:[1,0] neg_lo:[0,1] neg_hi:[0,1]
	v_bfi_b32 v80, s11, v81, v24
	v_bfi_b32 v24, s11, v24, v81
	ds_write_b32 v39, v24 offset:24
	v_pk_add_f16 v24, v79, v91
	ds_write2_b32 v39, v90, v80 offset1:1
	v_pk_add_f16 v39, v79, v91 neg_lo:[0,1] neg_hi:[0,1]
	v_pk_add_f16 v79, v88, v24
	v_pk_add_f16 v81, v84, v82
	;; [unrolled: 1-line block ×3, first 2 shown]
	v_pk_add_f16 v80, v88, v24 neg_lo:[0,1] neg_hi:[0,1]
	v_pk_add_f16 v24, v24, v85 neg_lo:[0,1] neg_hi:[0,1]
	v_pk_add_f16 v81, v81, v39
	v_pk_add_f16 v83, v39, v84 neg_lo:[0,1] neg_hi:[0,1]
	v_pk_add_f16 v39, v82, v39 neg_lo:[0,1] neg_hi:[0,1]
	v_pk_add_f16 v78, v78, v79
	v_pk_mul_f16 v24, v24, s12 op_sel_hi:[1,0]
	v_pk_mul_f16 v80, v80, s13 op_sel_hi:[1,0]
	;; [unrolled: 1-line block ×3, first 2 shown]
	v_pk_add_f16 v85, v85, v88 neg_lo:[0,1] neg_hi:[0,1]
	v_pk_add_f16 v82, v84, v82 neg_lo:[0,1] neg_hi:[0,1]
	v_pk_fma_f16 v79, v79, s14, v78 op_sel_hi:[1,0,1] neg_lo:[1,0,0] neg_hi:[1,0,0]
	v_pk_add_f16 v86, v24, v80 op_sel:[1,1] op_sel_hi:[0,0] neg_lo:[1,1] neg_hi:[1,1]
	v_pk_fma_f16 v87, v83, s0, v39 op_sel_hi:[1,0,1] neg_lo:[1,0,1] neg_hi:[1,0,1]
	v_pk_fma_f16 v80, v85, s10, v80 op_sel_hi:[1,0,1] neg_lo:[1,0,0] neg_hi:[1,0,0]
	;; [unrolled: 1-line block ×3, first 2 shown]
	v_pk_add_f16 v86, v86, v79 op_sel:[0,1] op_sel_hi:[1,0]
	v_pk_fma_f16 v87, v81, s2, v87 op_sel_hi:[1,0,1]
	v_pk_add_f16 v80, v80, v79
	v_pk_fma_f16 v39, v81, s2, v39 op_sel_hi:[1,0,1]
	v_pk_add_f16 v89, v86, v87
	v_pk_add_f16 v86, v86, v87 neg_lo:[0,1] neg_hi:[0,1]
	v_pk_add_f16 v84, v80, v39 op_sel:[0,1] op_sel_hi:[1,0] neg_lo:[0,1] neg_hi:[0,1]
	v_pk_add_f16 v39, v80, v39 op_sel:[0,1] op_sel_hi:[1,0]
	v_alignbit_b32 v80, v86, v89, 16
	v_bfi_b32 v87, s11, v84, v39
	ds_write2_b32 v40, v80, v87 offset0:2 offset1:3
	v_bfi_b32 v39, s11, v39, v84
	v_alignbit_b32 v80, v89, v86, 16
	ds_write2_b32 v40, v39, v80 offset0:4 offset1:5
	v_pk_mul_f16 v39, v83, s0 op_sel_hi:[1,0]
	v_pk_fma_f16 v24, v85, s10, v24 op_sel_hi:[1,0,1]
	v_pk_fma_f16 v39, v82, s3, v39 op_sel_hi:[1,0,1]
	v_pk_add_f16 v24, v24, v79
	v_pk_fma_f16 v39, v81, s2, v39 op_sel_hi:[1,0,1]
	v_pk_add_f16 v79, v24, v39 op_sel:[0,1] op_sel_hi:[1,0]
	v_pk_add_f16 v24, v24, v39 op_sel:[0,1] op_sel_hi:[1,0] neg_lo:[0,1] neg_hi:[0,1]
	v_bfi_b32 v39, s11, v79, v24
	v_bfi_b32 v24, s11, v24, v79
	ds_write2_b32 v40, v78, v39 offset1:1
	ds_write_b32 v40, v24 offset:24
	s_waitcnt lgkmcnt(0)
	; wave barrier
	s_waitcnt lgkmcnt(0)
	ds_read2_b32 v[39:40], v17 offset0:112 offset1:128
	ds_read_b32 v79, v23
	s_mov_b32 s2, 0x92492492
	s_mov_b32 s3, 0x3f724924
	s_movk_i32 s10, 0x40f
	s_waitcnt lgkmcnt(1)
	v_lshrrev_b32_e32 v24, 16, v39
	v_mul_f16_sdwa v78, v37, v39 dst_sel:DWORD dst_unused:UNUSED_PAD src0_sel:WORD_1 src1_sel:DWORD
	v_fma_f16 v78, v37, v24, -v78
	v_mul_f16_sdwa v24, v37, v24 dst_sel:DWORD dst_unused:UNUSED_PAD src0_sel:WORD_1 src1_sel:DWORD
	v_fma_f16 v24, v37, v39, v24
	ds_read_b32 v37, v17 offset:832
	s_waitcnt lgkmcnt(1)
	v_lshrrev_b32_e32 v39, 16, v79
	v_sub_f16_e32 v24, v79, v24
	v_sub_f16_e32 v78, v39, v78
	v_fma_f16 v79, v79, 2.0, -v24
	v_fma_f16 v39, v39, 2.0, -v78
	v_pack_b32_f16 v39, v79, v39
	v_pack_b32_f16 v24, v24, v78
	ds_read2_b32 v[78:79], v17 offset0:16 offset1:32
	ds_read2_b32 v[80:81], v17 offset0:144 offset1:160
	;; [unrolled: 1-line block ×5, first 2 shown]
	s_waitcnt lgkmcnt(0)
	; wave barrier
	s_waitcnt lgkmcnt(0)
	ds_write2_b32 v46, v39, v24 offset1:7
	v_lshrrev_b32_e32 v24, 16, v40
	v_mul_f16_sdwa v39, v26, v24 dst_sel:DWORD dst_unused:UNUSED_PAD src0_sel:WORD_1 src1_sel:DWORD
	v_fma_f16 v39, v26, v40, v39
	v_mul_f16_sdwa v40, v26, v40 dst_sel:DWORD dst_unused:UNUSED_PAD src0_sel:WORD_1 src1_sel:DWORD
	v_fma_f16 v24, v26, v24, -v40
	v_sub_f16_e32 v26, v78, v39
	v_lshrrev_b32_e32 v39, 16, v78
	v_sub_f16_e32 v24, v39, v24
	v_fma_f16 v39, v39, 2.0, -v24
	v_fma_f16 v40, v78, 2.0, -v26
	v_pack_b32_f16 v39, v40, v39
	v_pack_b32_f16 v24, v26, v24
	ds_write2_b32 v48, v39, v24 offset1:7
	v_lshrrev_b32_e32 v24, 16, v80
	v_mul_f16_sdwa v26, v27, v80 dst_sel:DWORD dst_unused:UNUSED_PAD src0_sel:WORD_1 src1_sel:DWORD
	v_fma_f16 v26, v27, v24, -v26
	v_mul_f16_sdwa v24, v27, v24 dst_sel:DWORD dst_unused:UNUSED_PAD src0_sel:WORD_1 src1_sel:DWORD
	v_fma_f16 v24, v27, v80, v24
	v_lshrrev_b32_e32 v27, 16, v79
	v_sub_f16_e32 v24, v79, v24
	v_sub_f16_e32 v26, v27, v26
	v_fma_f16 v39, v79, 2.0, -v24
	v_fma_f16 v27, v27, 2.0, -v26
	v_pack_b32_f16 v27, v39, v27
	v_pack_b32_f16 v24, v24, v26
	ds_write2_b32 v49, v27, v24 offset1:7
	v_lshrrev_b32_e32 v24, 16, v81
	v_mul_f16_sdwa v26, v29, v24 dst_sel:DWORD dst_unused:UNUSED_PAD src0_sel:WORD_1 src1_sel:DWORD
	v_mul_f16_sdwa v27, v29, v81 dst_sel:DWORD dst_unused:UNUSED_PAD src0_sel:WORD_1 src1_sel:DWORD
	v_fma_f16 v26, v29, v81, v26
	v_fma_f16 v24, v29, v24, -v27
	v_lshrrev_b32_e32 v27, 16, v82
	v_sub_f16_e32 v26, v82, v26
	v_sub_f16_e32 v24, v27, v24
	v_fma_f16 v27, v27, 2.0, -v24
	v_fma_f16 v29, v82, 2.0, -v26
	v_pack_b32_f16 v27, v29, v27
	v_pack_b32_f16 v24, v26, v24
	ds_write2_b32 v50, v27, v24 offset1:7
	v_lshrrev_b32_e32 v24, 16, v84
	v_mul_f16_sdwa v26, v30, v84 dst_sel:DWORD dst_unused:UNUSED_PAD src0_sel:WORD_1 src1_sel:DWORD
	v_fma_f16 v26, v30, v24, -v26
	v_mul_f16_sdwa v24, v30, v24 dst_sel:DWORD dst_unused:UNUSED_PAD src0_sel:WORD_1 src1_sel:DWORD
	v_fma_f16 v24, v30, v84, v24
	v_lshrrev_b32_e32 v27, 16, v83
	v_sub_f16_e32 v24, v83, v24
	v_sub_f16_e32 v26, v27, v26
	v_fma_f16 v29, v83, 2.0, -v24
	v_fma_f16 v27, v27, 2.0, -v26
	v_pack_b32_f16 v27, v29, v27
	v_pack_b32_f16 v24, v24, v26
	ds_write2_b32 v51, v27, v24 offset1:7
	v_lshrrev_b32_e32 v24, 16, v85
	v_mul_f16_sdwa v26, v31, v24 dst_sel:DWORD dst_unused:UNUSED_PAD src0_sel:WORD_1 src1_sel:DWORD
	v_mul_f16_sdwa v27, v31, v85 dst_sel:DWORD dst_unused:UNUSED_PAD src0_sel:WORD_1 src1_sel:DWORD
	v_fma_f16 v26, v31, v85, v26
	v_fma_f16 v24, v31, v24, -v27
	v_lshrrev_b32_e32 v27, 16, v86
	v_sub_f16_e32 v26, v86, v26
	v_sub_f16_e32 v24, v27, v24
	v_fma_f16 v27, v27, 2.0, -v24
	v_fma_f16 v29, v86, 2.0, -v26
	v_pack_b32_f16 v27, v29, v27
	v_pack_b32_f16 v24, v26, v24
	ds_write2_b32 v52, v27, v24 offset1:7
	v_lshrrev_b32_e32 v24, 16, v37
	v_mul_f16_sdwa v26, v28, v24 dst_sel:DWORD dst_unused:UNUSED_PAD src0_sel:WORD_1 src1_sel:DWORD
	v_mul_f16_sdwa v27, v28, v37 dst_sel:DWORD dst_unused:UNUSED_PAD src0_sel:WORD_1 src1_sel:DWORD
	v_fma_f16 v26, v28, v37, v26
	v_fma_f16 v24, v28, v24, -v27
	v_lshrrev_b32_e32 v27, 16, v87
	v_sub_f16_e32 v26, v87, v26
	v_sub_f16_e32 v24, v27, v24
	v_fma_f16 v28, v87, 2.0, -v26
	v_fma_f16 v27, v27, 2.0, -v24
	v_pack_b32_f16 v27, v28, v27
	v_pack_b32_f16 v24, v26, v24
	ds_write2_b32 v53, v27, v24 offset1:7
	s_waitcnt lgkmcnt(0)
	; wave barrier
	s_waitcnt lgkmcnt(0)
	ds_read2_b32 v[26:27], v17 offset0:112 offset1:128
	ds_read_b32 v29, v23
	s_mov_b32 s11, 0x8000
	s_waitcnt lgkmcnt(1)
	v_lshrrev_b32_e32 v24, 16, v26
	v_mul_f16_sdwa v28, v41, v26 dst_sel:DWORD dst_unused:UNUSED_PAD src0_sel:WORD_1 src1_sel:DWORD
	v_fma_f16 v28, v41, v24, -v28
	v_mul_f16_sdwa v24, v41, v24 dst_sel:DWORD dst_unused:UNUSED_PAD src0_sel:WORD_1 src1_sel:DWORD
	v_fma_f16 v24, v41, v26, v24
	ds_read_b32 v26, v17 offset:832
	s_waitcnt lgkmcnt(1)
	v_lshrrev_b32_e32 v30, 16, v29
	v_sub_f16_e32 v24, v29, v24
	v_sub_f16_e32 v28, v30, v28
	v_fma_f16 v29, v29, 2.0, -v24
	v_fma_f16 v30, v30, 2.0, -v28
	v_pack_b32_f16 v37, v29, v30
	v_pack_b32_f16 v24, v24, v28
	ds_read2_b32 v[28:29], v17 offset0:16 offset1:32
	ds_read2_b32 v[30:31], v17 offset0:144 offset1:160
	;; [unrolled: 1-line block ×5, first 2 shown]
	s_waitcnt lgkmcnt(0)
	; wave barrier
	s_waitcnt lgkmcnt(0)
	ds_write2_b32 v56, v37, v24 offset1:14
	v_lshrrev_b32_e32 v24, 16, v27
	v_mul_f16_sdwa v37, v36, v24 dst_sel:DWORD dst_unused:UNUSED_PAD src0_sel:WORD_1 src1_sel:DWORD
	v_fma_f16 v37, v36, v27, v37
	v_mul_f16_sdwa v27, v36, v27 dst_sel:DWORD dst_unused:UNUSED_PAD src0_sel:WORD_1 src1_sel:DWORD
	v_fma_f16 v24, v36, v24, -v27
	v_lshrrev_b32_e32 v36, 16, v28
	v_sub_f16_e32 v27, v28, v37
	v_sub_f16_e32 v24, v36, v24
	v_fma_f16 v36, v36, 2.0, -v24
	v_fma_f16 v28, v28, 2.0, -v27
	v_pack_b32_f16 v28, v28, v36
	v_pack_b32_f16 v24, v27, v24
	ds_write2_b32 v57, v28, v24 offset1:14
	v_lshrrev_b32_e32 v24, 16, v30
	v_mul_f16_sdwa v27, v34, v30 dst_sel:DWORD dst_unused:UNUSED_PAD src0_sel:WORD_1 src1_sel:DWORD
	v_fma_f16 v27, v34, v24, -v27
	v_mul_f16_sdwa v24, v34, v24 dst_sel:DWORD dst_unused:UNUSED_PAD src0_sel:WORD_1 src1_sel:DWORD
	v_fma_f16 v24, v34, v30, v24
	v_lshrrev_b32_e32 v28, 16, v29
	v_sub_f16_e32 v24, v29, v24
	v_sub_f16_e32 v27, v28, v27
	v_fma_f16 v29, v29, 2.0, -v24
	v_fma_f16 v28, v28, 2.0, -v27
	v_pack_b32_f16 v28, v29, v28
	v_pack_b32_f16 v24, v24, v27
	ds_write2_b32 v58, v28, v24 offset1:14
	v_lshrrev_b32_e32 v24, 16, v31
	v_mul_f16_sdwa v27, v32, v24 dst_sel:DWORD dst_unused:UNUSED_PAD src0_sel:WORD_1 src1_sel:DWORD
	v_mul_f16_sdwa v28, v32, v31 dst_sel:DWORD dst_unused:UNUSED_PAD src0_sel:WORD_1 src1_sel:DWORD
	v_fma_f16 v27, v32, v31, v27
	v_fma_f16 v24, v32, v24, -v28
	v_lshrrev_b32_e32 v28, 16, v39
	v_sub_f16_e32 v27, v39, v27
	v_sub_f16_e32 v24, v28, v24
	v_fma_f16 v28, v28, 2.0, -v24
	v_fma_f16 v29, v39, 2.0, -v27
	v_pack_b32_f16 v28, v29, v28
	v_pack_b32_f16 v24, v27, v24
	ds_write2_b32 v59, v28, v24 offset1:14
	v_lshrrev_b32_e32 v24, 16, v48
	v_mul_f16_sdwa v27, v33, v48 dst_sel:DWORD dst_unused:UNUSED_PAD src0_sel:WORD_1 src1_sel:DWORD
	v_fma_f16 v27, v33, v24, -v27
	v_mul_f16_sdwa v24, v33, v24 dst_sel:DWORD dst_unused:UNUSED_PAD src0_sel:WORD_1 src1_sel:DWORD
	v_fma_f16 v24, v33, v48, v24
	v_lshrrev_b32_e32 v28, 16, v40
	v_sub_f16_e32 v24, v40, v24
	v_sub_f16_e32 v27, v28, v27
	v_fma_f16 v29, v40, 2.0, -v24
	v_fma_f16 v28, v28, 2.0, -v27
	v_pack_b32_f16 v28, v29, v28
	v_pack_b32_f16 v24, v24, v27
	ds_write2_b32 v60, v28, v24 offset1:14
	v_lshrrev_b32_e32 v24, 16, v49
	v_mul_f16_sdwa v27, v38, v24 dst_sel:DWORD dst_unused:UNUSED_PAD src0_sel:WORD_1 src1_sel:DWORD
	v_mul_f16_sdwa v28, v38, v49 dst_sel:DWORD dst_unused:UNUSED_PAD src0_sel:WORD_1 src1_sel:DWORD
	v_fma_f16 v27, v38, v49, v27
	v_fma_f16 v24, v38, v24, -v28
	v_lshrrev_b32_e32 v28, 16, v50
	v_sub_f16_e32 v27, v50, v27
	v_sub_f16_e32 v24, v28, v24
	v_fma_f16 v28, v28, 2.0, -v24
	v_fma_f16 v29, v50, 2.0, -v27
	v_pack_b32_f16 v28, v29, v28
	v_pack_b32_f16 v24, v27, v24
	ds_write2_b32 v61, v28, v24 offset1:14
	v_lshrrev_b32_e32 v24, 16, v26
	v_mul_f16_sdwa v27, v35, v24 dst_sel:DWORD dst_unused:UNUSED_PAD src0_sel:WORD_1 src1_sel:DWORD
	v_fma_f16 v27, v35, v26, v27
	v_mul_f16_sdwa v26, v35, v26 dst_sel:DWORD dst_unused:UNUSED_PAD src0_sel:WORD_1 src1_sel:DWORD
	v_fma_f16 v24, v35, v24, -v26
	v_sub_f16_e32 v26, v51, v27
	v_lshrrev_b32_e32 v27, 16, v51
	v_sub_f16_e32 v24, v27, v24
	v_fma_f16 v28, v51, 2.0, -v26
	v_fma_f16 v27, v27, 2.0, -v24
	v_pack_b32_f16 v27, v28, v27
	v_pack_b32_f16 v24, v26, v24
	ds_write2_b32 v62, v27, v24 offset1:14
	s_waitcnt lgkmcnt(0)
	; wave barrier
	s_waitcnt lgkmcnt(0)
	ds_read2_b32 v[26:27], v17 offset0:112 offset1:128
	ds_read_b32 v30, v23
	ds_read_b32 v38, v17 offset:832
	s_waitcnt lgkmcnt(2)
	v_lshrrev_b32_e32 v24, 16, v26
	v_mul_f16_sdwa v28, v55, v26 dst_sel:DWORD dst_unused:UNUSED_PAD src0_sel:WORD_1 src1_sel:DWORD
	v_fma_f16 v28, v55, v24, -v28
	v_mul_f16_sdwa v24, v55, v24 dst_sel:DWORD dst_unused:UNUSED_PAD src0_sel:WORD_1 src1_sel:DWORD
	v_fma_f16 v24, v55, v26, v24
	v_lshrrev_b32_e32 v26, 16, v27
	v_mul_f16_sdwa v29, v54, v26 dst_sel:DWORD dst_unused:UNUSED_PAD src0_sel:WORD_1 src1_sel:DWORD
	v_fma_f16 v36, v54, v27, v29
	v_mul_f16_sdwa v27, v54, v27 dst_sel:DWORD dst_unused:UNUSED_PAD src0_sel:WORD_1 src1_sel:DWORD
	v_fma_f16 v37, v54, v26, -v27
	s_waitcnt lgkmcnt(1)
	v_lshrrev_b32_e32 v26, 16, v30
	v_sub_f16_e32 v24, v30, v24
	v_sub_f16_e32 v27, v26, v28
	v_fma_f16 v28, v30, 2.0, -v24
	v_fma_f16 v26, v26, 2.0, -v27
	v_pack_b32_f16 v39, v28, v26
	v_pack_b32_f16 v24, v24, v27
	ds_read2_b32 v[26:27], v17 offset0:16 offset1:32
	ds_read2_b32 v[28:29], v17 offset0:144 offset1:160
	;; [unrolled: 1-line block ×5, first 2 shown]
	s_waitcnt lgkmcnt(0)
	; wave barrier
	s_waitcnt lgkmcnt(0)
	ds_write2_b32 v23, v39, v24 offset1:28
	v_sub_f16_e32 v24, v26, v36
	v_lshrrev_b32_e32 v36, 16, v26
	v_sub_f16_e32 v37, v36, v37
	v_fma_f16 v36, v36, 2.0, -v37
	v_fma_f16 v26, v26, 2.0, -v24
	v_pack_b32_f16 v26, v26, v36
	v_pack_b32_f16 v24, v24, v37
	ds_write2_b32 v64, v26, v24 offset1:28
	v_lshrrev_b32_e32 v24, 16, v28
	v_mul_f16_sdwa v26, v43, v28 dst_sel:DWORD dst_unused:UNUSED_PAD src0_sel:WORD_1 src1_sel:DWORD
	v_fma_f16 v26, v43, v24, -v26
	v_mul_f16_sdwa v24, v43, v24 dst_sel:DWORD dst_unused:UNUSED_PAD src0_sel:WORD_1 src1_sel:DWORD
	v_fma_f16 v24, v43, v28, v24
	v_lshrrev_b32_e32 v28, 16, v29
	v_mul_f16_sdwa v36, v47, v28 dst_sel:DWORD dst_unused:UNUSED_PAD src0_sel:WORD_1 src1_sel:DWORD
	v_fma_f16 v36, v47, v29, v36
	v_mul_f16_sdwa v29, v47, v29 dst_sel:DWORD dst_unused:UNUSED_PAD src0_sel:WORD_1 src1_sel:DWORD
	v_fma_f16 v28, v47, v28, -v29
	v_lshrrev_b32_e32 v29, 16, v27
	v_sub_f16_e32 v24, v27, v24
	v_sub_f16_e32 v26, v29, v26
	v_fma_f16 v27, v27, 2.0, -v24
	v_fma_f16 v29, v29, 2.0, -v26
	v_pack_b32_f16 v27, v27, v29
	v_pack_b32_f16 v24, v24, v26
	v_lshrrev_b32_e32 v26, 16, v30
	ds_write2_b32 v23, v27, v24 offset0:60 offset1:88
	v_sub_f16_e32 v24, v30, v36
	v_sub_f16_e32 v27, v26, v28
	v_fma_f16 v26, v26, 2.0, -v27
	v_fma_f16 v28, v30, 2.0, -v24
	v_pack_b32_f16 v26, v28, v26
	v_pack_b32_f16 v24, v24, v27
	ds_write2_b32 v65, v26, v24 offset1:28
	v_lshrrev_b32_e32 v24, 16, v32
	v_mul_f16_sdwa v26, v44, v32 dst_sel:DWORD dst_unused:UNUSED_PAD src0_sel:WORD_1 src1_sel:DWORD
	v_fma_f16 v26, v44, v24, -v26
	v_mul_f16_sdwa v24, v44, v24 dst_sel:DWORD dst_unused:UNUSED_PAD src0_sel:WORD_1 src1_sel:DWORD
	v_fma_f16 v24, v44, v32, v24
	v_lshrrev_b32_e32 v27, 16, v31
	v_sub_f16_e32 v24, v31, v24
	v_sub_f16_e32 v26, v27, v26
	v_fma_f16 v28, v31, 2.0, -v24
	v_fma_f16 v27, v27, 2.0, -v26
	v_pack_b32_f16 v27, v28, v27
	v_pack_b32_f16 v24, v24, v26
	ds_write2_b32 v66, v27, v24 offset0:112 offset1:140
	v_lshrrev_b32_e32 v24, 16, v33
	v_mul_f16_sdwa v26, v45, v24 dst_sel:DWORD dst_unused:UNUSED_PAD src0_sel:WORD_1 src1_sel:DWORD
	v_mul_f16_sdwa v27, v45, v33 dst_sel:DWORD dst_unused:UNUSED_PAD src0_sel:WORD_1 src1_sel:DWORD
	v_fma_f16 v26, v45, v33, v26
	v_fma_f16 v24, v45, v24, -v27
	v_lshrrev_b32_e32 v27, 16, v34
	v_sub_f16_e32 v26, v34, v26
	v_sub_f16_e32 v24, v27, v24
	v_fma_f16 v27, v27, 2.0, -v24
	v_fma_f16 v28, v34, 2.0, -v26
	v_pack_b32_f16 v27, v28, v27
	v_pack_b32_f16 v24, v26, v24
	ds_write2_b32 v67, v27, v24 offset1:28
	v_lshrrev_b32_e32 v24, 16, v38
	v_mul_f16_sdwa v26, v42, v24 dst_sel:DWORD dst_unused:UNUSED_PAD src0_sel:WORD_1 src1_sel:DWORD
	v_mul_f16_sdwa v27, v42, v38 dst_sel:DWORD dst_unused:UNUSED_PAD src0_sel:WORD_1 src1_sel:DWORD
	v_fma_f16 v26, v42, v38, v26
	v_fma_f16 v24, v42, v24, -v27
	v_lshrrev_b32_e32 v27, 16, v35
	v_sub_f16_e32 v26, v35, v26
	v_sub_f16_e32 v24, v27, v24
	v_fma_f16 v28, v35, 2.0, -v26
	v_fma_f16 v27, v27, 2.0, -v24
	v_pack_b32_f16 v27, v28, v27
	v_pack_b32_f16 v24, v26, v24
	ds_write2_b32 v68, v27, v24 offset0:168 offset1:196
	s_waitcnt lgkmcnt(0)
	; wave barrier
	s_waitcnt lgkmcnt(0)
	ds_read2_b32 v[26:27], v17 offset0:112 offset1:128
	ds_read2_b32 v[28:29], v17 offset0:144 offset1:160
	s_waitcnt lgkmcnt(1)
	v_lshrrev_b32_e32 v24, 16, v26
	v_mul_f16_sdwa v31, v2, v26 dst_sel:DWORD dst_unused:UNUSED_PAD src0_sel:WORD_1 src1_sel:DWORD
	v_lshrrev_b32_e32 v30, 16, v27
	v_fma_f16 v31, v2, v24, -v31
	v_mul_f16_sdwa v24, v2, v24 dst_sel:DWORD dst_unused:UNUSED_PAD src0_sel:WORD_1 src1_sel:DWORD
	v_fma_f16 v2, v2, v26, v24
	v_mul_f16_sdwa v24, v77, v30 dst_sel:DWORD dst_unused:UNUSED_PAD src0_sel:WORD_1 src1_sel:DWORD
	v_mul_f16_sdwa v26, v77, v27 dst_sel:DWORD dst_unused:UNUSED_PAD src0_sel:WORD_1 src1_sel:DWORD
	v_fma_f16 v24, v77, v27, v24
	s_waitcnt lgkmcnt(0)
	v_lshrrev_b32_e32 v27, 16, v28
	v_fma_f16 v32, v77, v30, -v26
	v_mul_f16_sdwa v26, v76, v28 dst_sel:DWORD dst_unused:UNUSED_PAD src0_sel:WORD_1 src1_sel:DWORD
	v_fma_f16 v33, v76, v27, -v26
	v_mul_f16_sdwa v26, v76, v27 dst_sel:DWORD dst_unused:UNUSED_PAD src0_sel:WORD_1 src1_sel:DWORD
	v_fma_f16 v34, v76, v28, v26
	ds_read2_b32 v[26:27], v17 offset0:176 offset1:192
	v_lshrrev_b32_e32 v30, 16, v29
	v_mul_f16_sdwa v28, v75, v30 dst_sel:DWORD dst_unused:UNUSED_PAD src0_sel:WORD_1 src1_sel:DWORD
	v_fma_f16 v35, v75, v29, v28
	v_mul_f16_sdwa v28, v75, v29 dst_sel:DWORD dst_unused:UNUSED_PAD src0_sel:WORD_1 src1_sel:DWORD
	v_fma_f16 v36, v75, v30, -v28
	s_waitcnt lgkmcnt(0)
	v_lshrrev_b32_e32 v28, 16, v26
	v_mul_f16_sdwa v29, v74, v26 dst_sel:DWORD dst_unused:UNUSED_PAD src0_sel:WORD_1 src1_sel:DWORD
	v_fma_f16 v37, v74, v28, -v29
	v_mul_f16_sdwa v28, v74, v28 dst_sel:DWORD dst_unused:UNUSED_PAD src0_sel:WORD_1 src1_sel:DWORD
	v_fma_f16 v38, v74, v26, v28
	v_lshrrev_b32_e32 v26, 16, v27
	ds_read_b32 v29, v17 offset:832
	v_mul_f16_sdwa v28, v70, v26 dst_sel:DWORD dst_unused:UNUSED_PAD src0_sel:WORD_1 src1_sel:DWORD
	v_fma_f16 v39, v70, v27, v28
	v_mul_f16_sdwa v27, v70, v27 dst_sel:DWORD dst_unused:UNUSED_PAD src0_sel:WORD_1 src1_sel:DWORD
	v_fma_f16 v40, v70, v26, -v27
	ds_read_b32 v26, v23
	s_waitcnt lgkmcnt(1)
	v_lshrrev_b32_e32 v27, 16, v29
	v_mul_f16_sdwa v28, v63, v27 dst_sel:DWORD dst_unused:UNUSED_PAD src0_sel:WORD_1 src1_sel:DWORD
	v_fma_f16 v41, v63, v29, v28
	v_mul_f16_sdwa v28, v63, v29 dst_sel:DWORD dst_unused:UNUSED_PAD src0_sel:WORD_1 src1_sel:DWORD
	v_fma_f16 v42, v63, v27, -v28
	s_waitcnt lgkmcnt(0)
	v_lshrrev_b32_e32 v27, 16, v26
	v_sub_f16_e32 v2, v26, v2
	v_sub_f16_e32 v28, v27, v31
	v_fma_f16 v26, v26, 2.0, -v2
	v_fma_f16 v27, v27, 2.0, -v28
	v_pack_b32_f16 v43, v26, v27
	v_pack_b32_f16 v2, v2, v28
	ds_read2_b32 v[26:27], v17 offset0:16 offset1:32
	ds_read2_b32 v[28:29], v17 offset0:48 offset1:64
	;; [unrolled: 1-line block ×3, first 2 shown]
	s_waitcnt lgkmcnt(0)
	; wave barrier
	s_waitcnt lgkmcnt(0)
	ds_write2_b32 v23, v43, v2 offset1:56
	v_sub_f16_e32 v2, v26, v24
	v_sub_f16_e32 v24, v27, v34
	v_lshrrev_b32_e32 v34, 16, v26
	v_sub_f16_e32 v32, v34, v32
	v_fma_f16 v26, v26, 2.0, -v2
	v_fma_f16 v34, v34, 2.0, -v32
	v_lshrrev_b32_e32 v43, 16, v27
	v_pack_b32_f16 v26, v26, v34
	v_pack_b32_f16 v2, v2, v32
	ds_write_b32 v17, v26 offset:64
	ds_write_b32 v23, v2 offset:288
	v_sub_f16_e32 v2, v43, v33
	v_fma_f16 v27, v27, 2.0, -v24
	v_fma_f16 v26, v43, 2.0, -v2
	v_lshrrev_b32_e32 v44, 16, v28
	v_pack_b32_f16 v26, v27, v26
	v_pack_b32_f16 v2, v24, v2
	v_sub_f16_e32 v35, v28, v35
	ds_write_b32 v17, v26 offset:128
	ds_write_b32 v23, v2 offset:352
	v_sub_f16_e32 v2, v44, v36
	v_lshrrev_b32_e32 v45, 16, v29
	v_fma_f16 v28, v28, 2.0, -v35
	v_lshrrev_b32_e32 v46, 16, v30
	v_fma_f16 v24, v44, 2.0, -v2
	v_sub_f16_e32 v38, v29, v38
	v_sub_f16_e32 v39, v30, v39
	v_lshrrev_b32_e32 v47, 16, v31
	v_pack_b32_f16 v24, v28, v24
	v_sub_f16_e32 v26, v45, v37
	v_sub_f16_e32 v28, v46, v40
	v_fma_f16 v29, v29, 2.0, -v38
	v_sub_f16_e32 v41, v31, v41
	v_fma_f16 v30, v30, 2.0, -v39
	v_pack_b32_f16 v2, v35, v2
	v_fma_f16 v27, v45, 2.0, -v26
	v_fma_f16 v32, v46, 2.0, -v28
	v_sub_f16_e32 v33, v47, v42
	v_fma_f16 v31, v31, 2.0, -v41
	v_fma_f16 v34, v47, 2.0, -v33
	ds_write2_b32 v3, v24, v2 offset1:56
	v_pack_b32_f16 v2, v29, v27
	v_pack_b32_f16 v24, v30, v32
	;; [unrolled: 1-line block ×3, first 2 shown]
	ds_write2_b32 v23, v2, v24 offset0:120 offset1:136
	v_pack_b32_f16 v24, v31, v34
	v_pack_b32_f16 v2, v39, v28
	ds_write2_b32 v23, v24, v3 offset0:152 offset1:176
	v_pack_b32_f16 v3, v41, v33
	ds_write2_b32 v23, v2, v3 offset0:192 offset1:208
	s_waitcnt lgkmcnt(0)
	; wave barrier
	s_waitcnt lgkmcnt(0)
	ds_read_b32 v24, v23
	ds_read2_b32 v[2:3], v17 offset0:112 offset1:128
	ds_read2_b32 v[26:27], v17 offset0:16 offset1:32
	;; [unrolled: 1-line block ×3, first 2 shown]
	ds_read_b32 v30, v17 offset:832
	s_waitcnt lgkmcnt(4)
	v_lshrrev_b32_e32 v31, 16, v24
	s_waitcnt lgkmcnt(3)
	v_lshrrev_b32_e32 v32, 16, v2
	v_mul_f16_sdwa v37, v72, v2 dst_sel:DWORD dst_unused:UNUSED_PAD src0_sel:WORD_1 src1_sel:DWORD
	v_lshrrev_b32_e32 v34, 16, v3
	v_fma_f16 v37, v72, v32, -v37
	v_mul_f16_sdwa v32, v72, v32 dst_sel:DWORD dst_unused:UNUSED_PAD src0_sel:WORD_1 src1_sel:DWORD
	v_fma_f16 v32, v72, v2, v32
	v_mul_f16_sdwa v2, v71, v34 dst_sel:DWORD dst_unused:UNUSED_PAD src0_sel:WORD_1 src1_sel:DWORD
	v_fma_f16 v38, v71, v3, v2
	v_mul_f16_sdwa v2, v71, v3 dst_sel:DWORD dst_unused:UNUSED_PAD src0_sel:WORD_1 src1_sel:DWORD
	v_fma_f16 v34, v71, v34, -v2
	ds_read2_b32 v[2:3], v17 offset0:176 offset1:192
	s_waitcnt lgkmcnt(2)
	v_lshrrev_b32_e32 v35, 16, v28
	v_mul_f16_sdwa v39, v69, v28 dst_sel:DWORD dst_unused:UNUSED_PAD src0_sel:WORD_1 src1_sel:DWORD
	v_lshrrev_b32_e32 v36, 16, v29
	v_fma_f16 v39, v69, v35, -v39
	v_mul_f16_sdwa v35, v69, v35 dst_sel:DWORD dst_unused:UNUSED_PAD src0_sel:WORD_1 src1_sel:DWORD
	v_fma_f16 v28, v69, v28, v35
	v_mul_f16_sdwa v35, v25, v36 dst_sel:DWORD dst_unused:UNUSED_PAD src0_sel:WORD_1 src1_sel:DWORD
	v_fma_f16 v35, v25, v29, v35
	v_mul_f16_sdwa v29, v25, v29 dst_sel:DWORD dst_unused:UNUSED_PAD src0_sel:WORD_1 src1_sel:DWORD
	s_waitcnt lgkmcnt(0)
	v_lshrrev_b32_e32 v40, 16, v2
	v_fma_f16 v25, v25, v36, -v29
	v_mul_f16_sdwa v36, v5, v2 dst_sel:DWORD dst_unused:UNUSED_PAD src0_sel:WORD_1 src1_sel:DWORD
	v_lshrrev_b32_e32 v29, 16, v3
	v_fma_f16 v36, v5, v40, -v36
	v_mul_f16_sdwa v40, v5, v40 dst_sel:DWORD dst_unused:UNUSED_PAD src0_sel:WORD_1 src1_sel:DWORD
	v_fma_f16 v40, v5, v2, v40
	v_mul_f16_sdwa v2, v4, v29 dst_sel:DWORD dst_unused:UNUSED_PAD src0_sel:WORD_1 src1_sel:DWORD
	v_fma_f16 v41, v4, v3, v2
	v_mul_f16_sdwa v2, v4, v3 dst_sel:DWORD dst_unused:UNUSED_PAD src0_sel:WORD_1 src1_sel:DWORD
	v_lshrrev_b32_e32 v3, 16, v30
	v_fma_f16 v29, v4, v29, -v2
	v_mul_f16_sdwa v2, v73, v3 dst_sel:DWORD dst_unused:UNUSED_PAD src0_sel:WORD_1 src1_sel:DWORD
	v_fma_f16 v42, v73, v30, v2
	v_mul_f16_sdwa v2, v73, v30 dst_sel:DWORD dst_unused:UNUSED_PAD src0_sel:WORD_1 src1_sel:DWORD
	v_sub_f16_e32 v32, v24, v32
	v_sub_f16_e32 v37, v31, v37
	v_fma_f16 v30, v73, v3, -v2
	ds_read2_b32 v[2:3], v17 offset0:48 offset1:64
	v_fma_f16 v4, v24, 2.0, -v32
	v_fma_f16 v5, v31, 2.0, -v37
	v_pack_b32_f16 v24, v4, v5
	ds_read2_b32 v[4:5], v17 offset0:80 offset1:96
	v_lshrrev_b32_e32 v33, 16, v26
	v_sub_f16_e32 v31, v26, v38
	v_sub_f16_e32 v34, v33, v34
	v_pack_b32_f16 v32, v32, v37
	v_pack_b32_f16 v37, v31, v34
	ds_write_b32 v23, v24
	ds_write2_b32 v17, v32, v37 offset0:112 offset1:128
	s_waitcnt lgkmcnt(3)
	v_lshrrev_b32_e32 v32, 16, v2
	v_lshrrev_b32_e32 v37, 16, v3
	v_fma_f16 v33, v33, 2.0, -v34
	s_waitcnt lgkmcnt(2)
	v_lshrrev_b32_e32 v34, 16, v4
	v_fma_f16 v26, v26, 2.0, -v31
	v_sub_f16_e32 v31, v2, v35
	v_sub_f16_e32 v35, v3, v40
	;; [unrolled: 1-line block ×4, first 2 shown]
	v_lshrrev_b32_e32 v24, 16, v27
	v_fma_f16 v2, v2, 2.0, -v31
	v_fma_f16 v3, v3, 2.0, -v35
	v_lshrrev_b32_e32 v38, 16, v5
	v_sub_f16_e32 v40, v4, v41
	v_fma_f16 v32, v32, 2.0, -v25
	v_fma_f16 v37, v37, 2.0, -v36
	v_sub_f16_e32 v29, v34, v29
	v_sub_f16_e32 v28, v27, v28
	v_sub_f16_e32 v41, v5, v42
	v_fma_f16 v4, v4, 2.0, -v40
	v_sub_f16_e32 v39, v24, v39
	v_fma_f16 v34, v34, 2.0, -v29
	v_sub_f16_e32 v30, v38, v30
	v_pack_b32_f16 v2, v2, v32
	v_pack_b32_f16 v3, v3, v37
	v_fma_f16 v27, v27, 2.0, -v28
	v_fma_f16 v5, v5, 2.0, -v41
	;; [unrolled: 1-line block ×4, first 2 shown]
	ds_write2_b32 v17, v2, v3 offset0:48 offset1:64
	v_pack_b32_f16 v2, v35, v36
	v_pack_b32_f16 v3, v4, v34
	;; [unrolled: 1-line block ×5, first 2 shown]
	ds_write2_b32 v17, v2, v4 offset0:176 offset1:192
	v_pack_b32_f16 v2, v5, v38
	ds_write2_b32 v17, v26, v24 offset0:16 offset1:32
	v_pack_b32_f16 v24, v28, v39
	v_pack_b32_f16 v25, v31, v25
	ds_write2_b32 v17, v3, v2 offset0:80 offset1:96
	v_pack_b32_f16 v2, v41, v30
	ds_write2_b32 v17, v24, v25 offset0:144 offset1:160
	ds_write_b32 v17, v2 offset:832
	s_waitcnt lgkmcnt(0)
	; wave barrier
	s_waitcnt lgkmcnt(0)
	ds_read_b32 v2, v23
	ds_read_b32 v23, v17 offset:832
	s_waitcnt lgkmcnt(1)
	v_lshrrev_b32_e32 v5, 16, v2
	v_mul_f16_sdwa v3, v20, v5 dst_sel:DWORD dst_unused:UNUSED_PAD src0_sel:WORD_1 src1_sel:DWORD
	v_fma_f16 v3, v20, v2, v3
	v_cvt_f32_f16_e32 v3, v3
	v_mul_f16_sdwa v2, v20, v2 dst_sel:DWORD dst_unused:UNUSED_PAD src0_sel:WORD_1 src1_sel:DWORD
	v_fma_f16 v2, v20, v5, -v2
	v_cvt_f32_f16_e32 v2, v2
	v_cvt_f64_f32_e32 v[3:4], v3
	v_mov_b32_e32 v20, 0x7c00
	v_mul_f64 v[3:4], v[3:4], s[2:3]
	v_and_or_b32 v3, v4, s6, v3
	v_cmp_ne_u32_e32 vcc, 0, v3
	v_cndmask_b32_e64 v3, 0, 1, vcc
	v_lshrrev_b32_e32 v24, 8, v4
	v_bfe_u32 v25, v4, 20, 11
	v_and_or_b32 v24, v24, s7, v3
	v_sub_u32_e32 v26, 0x3f1, v25
	v_or_b32_e32 v3, 0x1000, v24
	v_med3_i32 v26, v26, 0, 13
	v_lshrrev_b32_e32 v27, v26, v3
	v_lshlrev_b32_e32 v26, v26, v27
	v_cmp_ne_u32_e32 vcc, v26, v3
	v_cndmask_b32_e64 v3, 0, 1, vcc
	v_add_u32_e32 v26, 0xfffffc10, v25
	v_or_b32_e32 v3, v27, v3
	v_lshl_or_b32 v25, v26, 12, v24
	v_cmp_gt_i32_e32 vcc, 1, v26
	v_cndmask_b32_e32 v3, v25, v3, vcc
	v_and_b32_e32 v25, 7, v3
	v_cmp_lt_i32_e32 vcc, 5, v25
	v_cmp_eq_u32_e64 s[0:1], 3, v25
	v_lshrrev_b32_e32 v3, 2, v3
	s_or_b64 vcc, s[0:1], vcc
	v_addc_co_u32_e32 v5, vcc, 0, v3, vcc
	v_cvt_f64_f32_e32 v[2:3], v2
	v_cmp_gt_i32_e32 vcc, 31, v26
	v_cndmask_b32_e32 v5, v20, v5, vcc
	v_cmp_ne_u32_e32 vcc, 0, v24
	v_mul_f64 v[24:25], v[2:3], s[2:3]
	v_cndmask_b32_e64 v27, 0, 1, vcc
	v_lshl_or_b32 v2, v27, 9, v20
	v_cmp_eq_u32_e32 vcc, s10, v26
	v_cndmask_b32_e32 v2, v5, v2, vcc
	v_lshrrev_b32_e32 v3, 16, v4
	v_and_or_b32 v26, v3, s11, v2
	v_and_b32_e32 v26, 0xffff, v26
	v_and_or_b32 v2, v25, s6, v24
	v_cmp_ne_u32_e32 vcc, 0, v2
	v_cndmask_b32_e64 v2, 0, 1, vcc
	v_lshrrev_b32_e32 v3, 8, v25
	v_bfe_u32 v4, v25, 20, 11
	v_and_or_b32 v2, v3, s7, v2
	v_sub_u32_e32 v5, 0x3f1, v4
	v_or_b32_e32 v3, 0x1000, v2
	v_med3_i32 v5, v5, 0, 13
	v_lshrrev_b32_e32 v24, v5, v3
	v_lshlrev_b32_e32 v5, v5, v24
	v_cmp_ne_u32_e32 vcc, v5, v3
	v_cndmask_b32_e64 v3, 0, 1, vcc
	v_or_b32_e32 v3, v24, v3
	v_add_u32_e32 v24, 0xfffffc10, v4
	v_lshl_or_b32 v4, v24, 12, v2
	v_cmp_gt_i32_e32 vcc, 1, v24
	v_cndmask_b32_e32 v3, v4, v3, vcc
	v_and_b32_e32 v4, 7, v3
	v_cmp_lt_i32_e32 vcc, 5, v4
	v_cmp_eq_u32_e64 s[0:1], 3, v4
	v_lshrrev_b32_e32 v3, 2, v3
	s_or_b64 vcc, s[0:1], vcc
	v_addc_co_u32_e32 v3, vcc, 0, v3, vcc
	v_cmp_gt_i32_e32 vcc, 31, v24
	v_cndmask_b32_e32 v3, v20, v3, vcc
	v_cmp_ne_u32_e32 vcc, 0, v2
	v_cndmask_b32_e64 v2, 0, 1, vcc
	v_lshl_or_b32 v2, v2, 9, v20
	v_cmp_eq_u32_e32 vcc, s10, v24
	v_cndmask_b32_e32 v27, v3, v2, vcc
	ds_read2_b32 v[2:3], v17 offset0:16 offset1:32
	v_mad_u64_u32 v[4:5], s[0:1], s8, v18, 0
	v_lshrrev_b32_e32 v28, 16, v25
	v_and_or_b32 v27, v28, s11, v27
	v_mad_u64_u32 v[24:25], s[0:1], s9, v18, v[5:6]
	s_waitcnt lgkmcnt(0)
	v_lshrrev_b32_e32 v18, 16, v3
	v_mul_f16_sdwa v5, v22, v18 dst_sel:DWORD dst_unused:UNUSED_PAD src0_sel:WORD_1 src1_sel:DWORD
	v_fma_f16 v5, v22, v3, v5
	v_cvt_f32_f16_e32 v25, v5
	v_mov_b32_e32 v5, v24
	v_lshl_or_b32 v26, v27, 16, v26
	v_mov_b32_e32 v27, s5
	v_cvt_f64_f32_e32 v[24:25], v25
	v_add_co_u32_e32 v28, vcc, s4, v0
	v_addc_co_u32_e32 v27, vcc, v27, v1, vcc
	v_mul_f64 v[24:25], v[24:25], s[2:3]
	v_lshlrev_b64 v[0:1], 2, v[4:5]
	v_mul_f16_sdwa v3, v22, v3 dst_sel:DWORD dst_unused:UNUSED_PAD src0_sel:WORD_1 src1_sel:DWORD
	v_add_co_u32_e32 v4, vcc, v28, v0
	v_addc_co_u32_e32 v5, vcc, v27, v1, vcc
	global_store_dword v[4:5], v26, off
	v_and_or_b32 v0, v25, s6, v24
	v_cmp_ne_u32_e32 vcc, 0, v0
	v_cndmask_b32_e64 v0, 0, 1, vcc
	v_lshrrev_b32_e32 v1, 8, v25
	v_and_or_b32 v24, v1, s7, v0
	v_bfe_u32 v1, v25, 20, 11
	v_sub_u32_e32 v26, 0x3f1, v1
	v_or_b32_e32 v0, 0x1000, v24
	v_med3_i32 v26, v26, 0, 13
	v_lshrrev_b32_e32 v27, v26, v0
	v_lshlrev_b32_e32 v26, v26, v27
	v_cmp_ne_u32_e32 vcc, v26, v0
	v_fma_f16 v3, v22, v18, -v3
	v_cndmask_b32_e64 v0, 0, 1, vcc
	v_add_u32_e32 v28, 0xfffffc10, v1
	v_cvt_f32_f16_e32 v3, v3
	v_or_b32_e32 v0, v27, v0
	v_lshl_or_b32 v1, v28, 12, v24
	v_cmp_gt_i32_e32 vcc, 1, v28
	v_cndmask_b32_e32 v0, v1, v0, vcc
	v_and_b32_e32 v1, 7, v0
	v_cmp_lt_i32_e32 vcc, 5, v1
	v_cmp_eq_u32_e64 s[0:1], 3, v1
	v_lshrrev_b32_e32 v18, 2, v0
	v_cvt_f64_f32_e32 v[0:1], v3
	s_or_b64 vcc, s[0:1], vcc
	v_addc_co_u32_e32 v3, vcc, 0, v18, vcc
	v_mul_f64 v[26:27], v[0:1], s[2:3]
	v_cmp_gt_i32_e32 vcc, 31, v28
	v_cndmask_b32_e32 v3, v20, v3, vcc
	v_cmp_ne_u32_e32 vcc, 0, v24
	v_cndmask_b32_e64 v0, 0, 1, vcc
	v_lshl_or_b32 v0, v0, 9, v20
	v_cmp_eq_u32_e32 vcc, s10, v28
	v_cndmask_b32_e32 v0, v3, v0, vcc
	v_lshrrev_b32_e32 v1, 16, v25
	v_and_or_b32 v3, v1, s11, v0
	v_and_or_b32 v0, v27, s6, v26
	v_cmp_ne_u32_e32 vcc, 0, v0
	v_cndmask_b32_e64 v0, 0, 1, vcc
	v_lshrrev_b32_e32 v1, 8, v27
	v_and_or_b32 v18, v1, s7, v0
	v_bfe_u32 v1, v27, 20, 11
	v_sub_u32_e32 v22, 0x3f1, v1
	v_or_b32_e32 v0, 0x1000, v18
	v_med3_i32 v22, v22, 0, 13
	v_lshrrev_b32_e32 v24, v22, v0
	v_lshlrev_b32_e32 v22, v22, v24
	v_cmp_ne_u32_e32 vcc, v22, v0
	v_cndmask_b32_e64 v0, 0, 1, vcc
	v_add_u32_e32 v22, 0xfffffc10, v1
	v_or_b32_e32 v0, v24, v0
	v_lshl_or_b32 v1, v22, 12, v18
	v_cmp_gt_i32_e32 vcc, 1, v22
	v_cndmask_b32_e32 v0, v1, v0, vcc
	v_and_b32_e32 v1, 7, v0
	v_cmp_lt_i32_e32 vcc, 5, v1
	v_cmp_eq_u32_e64 s[0:1], 3, v1
	v_lshrrev_b32_e32 v0, 2, v0
	s_or_b64 vcc, s[0:1], vcc
	v_addc_co_u32_e32 v24, vcc, 0, v0, vcc
	ds_read2_b32 v[0:1], v17 offset0:48 offset1:64
	v_cmp_gt_i32_e32 vcc, 31, v22
	v_cndmask_b32_e32 v24, v20, v24, vcc
	v_cmp_ne_u32_e32 vcc, 0, v18
	v_cndmask_b32_e64 v18, 0, 1, vcc
	s_waitcnt lgkmcnt(0)
	v_lshrrev_b32_e32 v28, 16, v1
	v_mul_f16_sdwa v25, v21, v28 dst_sel:DWORD dst_unused:UNUSED_PAD src0_sel:WORD_1 src1_sel:DWORD
	v_fma_f16 v25, v21, v1, v25
	v_cvt_f32_f16_e32 v25, v25
	v_lshl_or_b32 v18, v18, 9, v20
	v_cmp_eq_u32_e32 vcc, s10, v22
	v_cndmask_b32_e32 v18, v24, v18, vcc
	v_cvt_f64_f32_e32 v[24:25], v25
	v_lshrrev_b32_e32 v22, 16, v27
	v_and_or_b32 v18, v22, s11, v18
	v_and_b32_e32 v3, 0xffff, v3
	v_mul_f64 v[24:25], v[24:25], s[2:3]
	s_lshl_b64 s[4:5], s[8:9], 7
	v_lshl_or_b32 v3, v18, 16, v3
	v_mov_b32_e32 v18, s5
	v_add_co_u32_e32 v26, vcc, s4, v4
	v_addc_co_u32_e32 v27, vcc, v5, v18, vcc
	global_store_dword v[26:27], v3, off
	v_and_or_b32 v3, v25, s6, v24
	v_cmp_ne_u32_e32 vcc, 0, v3
	v_cndmask_b32_e64 v3, 0, 1, vcc
	v_lshrrev_b32_e32 v4, 8, v25
	v_and_or_b32 v22, v4, s7, v3
	v_bfe_u32 v4, v25, 20, 11
	v_sub_u32_e32 v5, 0x3f1, v4
	v_or_b32_e32 v3, 0x1000, v22
	v_med3_i32 v5, v5, 0, 13
	v_lshrrev_b32_e32 v24, v5, v3
	v_lshlrev_b32_e32 v5, v5, v24
	v_cmp_ne_u32_e32 vcc, v5, v3
	v_mul_f16_sdwa v1, v21, v1 dst_sel:DWORD dst_unused:UNUSED_PAD src0_sel:WORD_1 src1_sel:DWORD
	v_cndmask_b32_e64 v3, 0, 1, vcc
	v_fma_f16 v1, v21, v28, -v1
	v_or_b32_e32 v3, v24, v3
	v_add_u32_e32 v24, 0xfffffc10, v4
	v_cvt_f32_f16_e32 v1, v1
	v_lshl_or_b32 v4, v24, 12, v22
	v_cmp_gt_i32_e32 vcc, 1, v24
	v_cndmask_b32_e32 v3, v4, v3, vcc
	v_and_b32_e32 v4, 7, v3
	v_cmp_lt_i32_e32 vcc, 5, v4
	v_cmp_eq_u32_e64 s[0:1], 3, v4
	v_lshrrev_b32_e32 v5, 2, v3
	v_cvt_f64_f32_e32 v[3:4], v1
	s_or_b64 vcc, s[0:1], vcc
	v_addc_co_u32_e32 v1, vcc, 0, v5, vcc
	v_mul_f64 v[4:5], v[3:4], s[2:3]
	v_cmp_gt_i32_e32 vcc, 31, v24
	v_cndmask_b32_e32 v1, v20, v1, vcc
	v_cmp_ne_u32_e32 vcc, 0, v22
	v_cndmask_b32_e64 v3, 0, 1, vcc
	v_lshl_or_b32 v3, v3, 9, v20
	v_cmp_eq_u32_e32 vcc, s10, v24
	v_cndmask_b32_e32 v1, v1, v3, vcc
	v_lshrrev_b32_e32 v3, 16, v25
	v_and_or_b32 v1, v3, s11, v1
	v_and_or_b32 v3, v5, s6, v4
	v_cmp_ne_u32_e32 vcc, 0, v3
	v_cndmask_b32_e64 v3, 0, 1, vcc
	v_lshrrev_b32_e32 v4, 8, v5
	v_and_or_b32 v21, v4, s7, v3
	v_bfe_u32 v4, v5, 20, 11
	v_sub_u32_e32 v22, 0x3f1, v4
	v_or_b32_e32 v3, 0x1000, v21
	v_med3_i32 v22, v22, 0, 13
	v_lshrrev_b32_e32 v24, v22, v3
	v_lshlrev_b32_e32 v22, v22, v24
	v_cmp_ne_u32_e32 vcc, v22, v3
	v_cndmask_b32_e64 v3, 0, 1, vcc
	v_or_b32_e32 v3, v24, v3
	v_add_u32_e32 v24, 0xfffffc10, v4
	v_lshl_or_b32 v4, v24, 12, v21
	v_cmp_gt_i32_e32 vcc, 1, v24
	v_cndmask_b32_e32 v3, v4, v3, vcc
	v_and_b32_e32 v4, 7, v3
	v_cmp_lt_i32_e32 vcc, 5, v4
	v_cmp_eq_u32_e64 s[0:1], 3, v4
	v_lshrrev_b32_e32 v22, 2, v3
	ds_read2_b32 v[3:4], v17 offset0:80 offset1:96
	s_or_b64 vcc, s[0:1], vcc
	v_addc_co_u32_e32 v22, vcc, 0, v22, vcc
	v_cmp_gt_i32_e32 vcc, 31, v24
	s_waitcnt lgkmcnt(0)
	v_lshrrev_b32_e32 v28, 16, v4
	v_cndmask_b32_e32 v25, v20, v22, vcc
	v_mul_f16_sdwa v22, v19, v28 dst_sel:DWORD dst_unused:UNUSED_PAD src0_sel:WORD_1 src1_sel:DWORD
	v_fma_f16 v22, v19, v4, v22
	v_cvt_f32_f16_e32 v22, v22
	v_cmp_ne_u32_e32 vcc, 0, v21
	v_cndmask_b32_e64 v21, 0, 1, vcc
	v_lshl_or_b32 v29, v21, 9, v20
	v_cvt_f64_f32_e32 v[21:22], v22
	v_cmp_eq_u32_e32 vcc, s10, v24
	v_cndmask_b32_e32 v24, v25, v29, vcc
	v_lshrrev_b32_e32 v5, 16, v5
	v_mul_f64 v[21:22], v[21:22], s[2:3]
	v_and_or_b32 v5, v5, s11, v24
	v_and_b32_e32 v1, 0xffff, v1
	v_add_co_u32_e32 v24, vcc, s4, v26
	v_lshl_or_b32 v1, v5, 16, v1
	v_addc_co_u32_e32 v25, vcc, v27, v18, vcc
	global_store_dword v[24:25], v1, off
	v_and_or_b32 v1, v22, s6, v21
	v_cmp_ne_u32_e32 vcc, 0, v1
	v_cndmask_b32_e64 v1, 0, 1, vcc
	v_lshrrev_b32_e32 v5, 8, v22
	v_bfe_u32 v21, v22, 20, 11
	v_and_or_b32 v1, v5, s7, v1
	v_sub_u32_e32 v26, 0x3f1, v21
	v_or_b32_e32 v5, 0x1000, v1
	v_med3_i32 v26, v26, 0, 13
	v_lshrrev_b32_e32 v27, v26, v5
	v_mul_f16_sdwa v4, v19, v4 dst_sel:DWORD dst_unused:UNUSED_PAD src0_sel:WORD_1 src1_sel:DWORD
	v_lshlrev_b32_e32 v26, v26, v27
	v_fma_f16 v4, v19, v28, -v4
	v_cmp_ne_u32_e32 vcc, v26, v5
	v_cvt_f32_f16_e32 v4, v4
	v_cndmask_b32_e64 v5, 0, 1, vcc
	v_add_u32_e32 v21, 0xfffffc10, v21
	v_or_b32_e32 v5, v27, v5
	v_lshl_or_b32 v26, v21, 12, v1
	v_cmp_gt_i32_e32 vcc, 1, v21
	v_cndmask_b32_e32 v5, v26, v5, vcc
	v_and_b32_e32 v26, 7, v5
	v_lshrrev_b32_e32 v19, 2, v5
	v_cvt_f64_f32_e32 v[4:5], v4
	v_cmp_lt_i32_e32 vcc, 5, v26
	v_cmp_eq_u32_e64 s[0:1], 3, v26
	s_or_b64 vcc, s[0:1], vcc
	v_mul_f64 v[26:27], v[4:5], s[2:3]
	v_addc_co_u32_e32 v19, vcc, 0, v19, vcc
	v_cmp_gt_i32_e32 vcc, 31, v21
	v_cndmask_b32_e32 v19, v20, v19, vcc
	v_cmp_ne_u32_e32 vcc, 0, v1
	v_cndmask_b32_e64 v1, 0, 1, vcc
	v_lshl_or_b32 v1, v1, 9, v20
	v_cmp_eq_u32_e32 vcc, s10, v21
	v_cndmask_b32_e32 v1, v19, v1, vcc
	v_lshrrev_b32_e32 v4, 16, v22
	v_and_or_b32 v1, v4, s11, v1
	v_and_or_b32 v4, v27, s6, v26
	v_cmp_ne_u32_e32 vcc, 0, v4
	v_cndmask_b32_e64 v4, 0, 1, vcc
	v_lshrrev_b32_e32 v5, 8, v27
	v_and_or_b32 v19, v5, s7, v4
	v_bfe_u32 v5, v27, 20, 11
	v_sub_u32_e32 v21, 0x3f1, v5
	v_or_b32_e32 v4, 0x1000, v19
	v_med3_i32 v21, v21, 0, 13
	v_lshrrev_b32_e32 v22, v21, v4
	v_lshlrev_b32_e32 v21, v21, v22
	v_cmp_ne_u32_e32 vcc, v21, v4
	v_cndmask_b32_e64 v4, 0, 1, vcc
	v_add_u32_e32 v26, 0xfffffc10, v5
	v_or_b32_e32 v4, v22, v4
	v_lshl_or_b32 v5, v26, 12, v19
	v_cmp_gt_i32_e32 vcc, 1, v26
	v_cndmask_b32_e32 v4, v5, v4, vcc
	v_and_b32_e32 v5, 7, v4
	v_cmp_lt_i32_e32 vcc, 5, v5
	v_cmp_eq_u32_e64 s[0:1], 3, v5
	v_lshrrev_b32_e32 v21, 2, v4
	ds_read2_b32 v[4:5], v17 offset0:112 offset1:128
	s_or_b64 vcc, s[0:1], vcc
	v_addc_co_u32_e32 v21, vcc, 0, v21, vcc
	v_cmp_gt_i32_e32 vcc, 31, v26
	s_waitcnt lgkmcnt(0)
	v_lshrrev_b32_e32 v29, 16, v5
	v_cndmask_b32_e32 v28, v20, v21, vcc
	v_mul_f16_sdwa v21, v6, v29 dst_sel:DWORD dst_unused:UNUSED_PAD src0_sel:WORD_1 src1_sel:DWORD
	v_fma_f16 v21, v6, v5, v21
	v_cvt_f32_f16_e32 v21, v21
	v_cmp_ne_u32_e32 vcc, 0, v19
	v_cndmask_b32_e64 v19, 0, 1, vcc
	v_lshl_or_b32 v19, v19, 9, v20
	v_cvt_f64_f32_e32 v[21:22], v21
	v_cmp_eq_u32_e32 vcc, s10, v26
	v_cndmask_b32_e32 v19, v28, v19, vcc
	v_lshrrev_b32_e32 v26, 16, v27
	v_mul_f64 v[21:22], v[21:22], s[2:3]
	v_and_or_b32 v19, v26, s11, v19
	v_and_b32_e32 v1, 0xffff, v1
	v_add_co_u32_e32 v24, vcc, s4, v24
	v_lshl_or_b32 v1, v19, 16, v1
	v_addc_co_u32_e32 v25, vcc, v25, v18, vcc
	global_store_dword v[24:25], v1, off
	v_and_or_b32 v1, v22, s6, v21
	v_cmp_ne_u32_e32 vcc, 0, v1
	v_cndmask_b32_e64 v1, 0, 1, vcc
	v_lshrrev_b32_e32 v19, 8, v22
	v_bfe_u32 v21, v22, 20, 11
	v_mul_f16_sdwa v5, v6, v5 dst_sel:DWORD dst_unused:UNUSED_PAD src0_sel:WORD_1 src1_sel:DWORD
	v_and_or_b32 v1, v19, s7, v1
	v_sub_u32_e32 v26, 0x3f1, v21
	v_fma_f16 v5, v6, v29, -v5
	v_or_b32_e32 v19, 0x1000, v1
	v_med3_i32 v26, v26, 0, 13
	v_cvt_f32_f16_e32 v5, v5
	v_lshrrev_b32_e32 v27, v26, v19
	v_lshlrev_b32_e32 v26, v26, v27
	v_cmp_ne_u32_e32 vcc, v26, v19
	v_cndmask_b32_e64 v19, 0, 1, vcc
	v_add_u32_e32 v21, 0xfffffc10, v21
	v_cvt_f64_f32_e32 v[5:6], v5
	v_or_b32_e32 v19, v27, v19
	v_lshl_or_b32 v26, v21, 12, v1
	v_cmp_gt_i32_e32 vcc, 1, v21
	v_cndmask_b32_e32 v19, v26, v19, vcc
	v_and_b32_e32 v26, 7, v19
	v_cmp_lt_i32_e32 vcc, 5, v26
	v_cmp_eq_u32_e64 s[0:1], 3, v26
	v_mul_f64 v[26:27], v[5:6], s[2:3]
	v_lshrrev_b32_e32 v19, 2, v19
	s_or_b64 vcc, s[0:1], vcc
	v_addc_co_u32_e32 v19, vcc, 0, v19, vcc
	v_cmp_gt_i32_e32 vcc, 31, v21
	v_cndmask_b32_e32 v19, v20, v19, vcc
	v_cmp_ne_u32_e32 vcc, 0, v1
	v_cndmask_b32_e64 v1, 0, 1, vcc
	v_lshl_or_b32 v1, v1, 9, v20
	v_cmp_eq_u32_e32 vcc, s10, v21
	v_cndmask_b32_e32 v1, v19, v1, vcc
	v_lshrrev_b32_e32 v5, 16, v22
	v_and_or_b32 v1, v5, s11, v1
	v_and_or_b32 v5, v27, s6, v26
	v_cmp_ne_u32_e32 vcc, 0, v5
	v_cndmask_b32_e64 v5, 0, 1, vcc
	v_lshrrev_b32_e32 v6, 8, v27
	v_and_or_b32 v19, v6, s7, v5
	v_bfe_u32 v6, v27, 20, 11
	v_sub_u32_e32 v21, 0x3f1, v6
	v_or_b32_e32 v5, 0x1000, v19
	v_med3_i32 v21, v21, 0, 13
	v_lshrrev_b32_e32 v22, v21, v5
	v_lshlrev_b32_e32 v21, v21, v22
	v_cmp_ne_u32_e32 vcc, v21, v5
	v_cndmask_b32_e64 v5, 0, 1, vcc
	v_add_u32_e32 v26, 0xfffffc10, v6
	v_or_b32_e32 v5, v22, v5
	v_lshl_or_b32 v6, v26, 12, v19
	v_cmp_gt_i32_e32 vcc, 1, v26
	v_cndmask_b32_e32 v5, v6, v5, vcc
	v_and_b32_e32 v6, 7, v5
	v_cmp_lt_i32_e32 vcc, 5, v6
	v_cmp_eq_u32_e64 s[0:1], 3, v6
	v_lshrrev_b32_e32 v21, 2, v5
	ds_read2_b32 v[5:6], v17 offset0:144 offset1:160
	s_or_b64 vcc, s[0:1], vcc
	v_addc_co_u32_e32 v21, vcc, 0, v21, vcc
	v_cmp_gt_i32_e32 vcc, 31, v26
	s_waitcnt lgkmcnt(0)
	v_lshrrev_b32_e32 v29, 16, v6
	v_cndmask_b32_e32 v28, v20, v21, vcc
	v_mul_f16_sdwa v21, v7, v29 dst_sel:DWORD dst_unused:UNUSED_PAD src0_sel:WORD_1 src1_sel:DWORD
	v_fma_f16 v21, v7, v6, v21
	v_cvt_f32_f16_e32 v21, v21
	v_cmp_ne_u32_e32 vcc, 0, v19
	v_cndmask_b32_e64 v19, 0, 1, vcc
	v_lshl_or_b32 v19, v19, 9, v20
	v_cvt_f64_f32_e32 v[21:22], v21
	v_cmp_eq_u32_e32 vcc, s10, v26
	v_cndmask_b32_e32 v19, v28, v19, vcc
	v_lshrrev_b32_e32 v26, 16, v27
	v_mul_f64 v[21:22], v[21:22], s[2:3]
	v_and_or_b32 v19, v26, s11, v19
	v_and_b32_e32 v1, 0xffff, v1
	v_add_co_u32_e32 v24, vcc, s4, v24
	v_lshl_or_b32 v1, v19, 16, v1
	v_addc_co_u32_e32 v25, vcc, v25, v18, vcc
	global_store_dword v[24:25], v1, off
	v_and_or_b32 v1, v22, s6, v21
	v_cmp_ne_u32_e32 vcc, 0, v1
	v_cndmask_b32_e64 v1, 0, 1, vcc
	v_lshrrev_b32_e32 v19, 8, v22
	v_bfe_u32 v21, v22, 20, 11
	v_mul_f16_sdwa v6, v7, v6 dst_sel:DWORD dst_unused:UNUSED_PAD src0_sel:WORD_1 src1_sel:DWORD
	v_and_or_b32 v1, v19, s7, v1
	v_sub_u32_e32 v26, 0x3f1, v21
	v_fma_f16 v6, v7, v29, -v6
	v_or_b32_e32 v19, 0x1000, v1
	v_med3_i32 v26, v26, 0, 13
	v_cvt_f32_f16_e32 v6, v6
	v_lshrrev_b32_e32 v27, v26, v19
	v_lshlrev_b32_e32 v26, v26, v27
	v_cmp_ne_u32_e32 vcc, v26, v19
	v_cndmask_b32_e64 v19, 0, 1, vcc
	v_add_u32_e32 v21, 0xfffffc10, v21
	v_cvt_f64_f32_e32 v[6:7], v6
	v_or_b32_e32 v19, v27, v19
	v_lshl_or_b32 v26, v21, 12, v1
	v_cmp_gt_i32_e32 vcc, 1, v21
	v_cndmask_b32_e32 v19, v26, v19, vcc
	v_and_b32_e32 v26, 7, v19
	v_cmp_lt_i32_e32 vcc, 5, v26
	v_cmp_eq_u32_e64 s[0:1], 3, v26
	v_mul_f64 v[26:27], v[6:7], s[2:3]
	v_lshrrev_b32_e32 v19, 2, v19
	s_or_b64 vcc, s[0:1], vcc
	v_addc_co_u32_e32 v19, vcc, 0, v19, vcc
	v_cmp_gt_i32_e32 vcc, 31, v21
	v_cndmask_b32_e32 v19, v20, v19, vcc
	v_cmp_ne_u32_e32 vcc, 0, v1
	v_cndmask_b32_e64 v1, 0, 1, vcc
	v_lshl_or_b32 v1, v1, 9, v20
	v_cmp_eq_u32_e32 vcc, s10, v21
	v_cndmask_b32_e32 v1, v19, v1, vcc
	v_lshrrev_b32_e32 v6, 16, v22
	v_and_or_b32 v1, v6, s11, v1
	v_and_or_b32 v6, v27, s6, v26
	v_cmp_ne_u32_e32 vcc, 0, v6
	v_cndmask_b32_e64 v6, 0, 1, vcc
	v_lshrrev_b32_e32 v7, 8, v27
	v_and_or_b32 v19, v7, s7, v6
	v_bfe_u32 v7, v27, 20, 11
	v_sub_u32_e32 v21, 0x3f1, v7
	v_or_b32_e32 v6, 0x1000, v19
	v_med3_i32 v21, v21, 0, 13
	v_lshrrev_b32_e32 v22, v21, v6
	v_lshlrev_b32_e32 v21, v21, v22
	v_cmp_ne_u32_e32 vcc, v21, v6
	v_cndmask_b32_e64 v6, 0, 1, vcc
	v_add_u32_e32 v26, 0xfffffc10, v7
	v_or_b32_e32 v6, v22, v6
	v_lshl_or_b32 v7, v26, 12, v19
	v_cmp_gt_i32_e32 vcc, 1, v26
	v_cndmask_b32_e32 v6, v7, v6, vcc
	v_and_b32_e32 v7, 7, v6
	v_cmp_lt_i32_e32 vcc, 5, v7
	v_cmp_eq_u32_e64 s[0:1], 3, v7
	v_lshrrev_b32_e32 v21, 2, v6
	ds_read2_b32 v[6:7], v17 offset0:176 offset1:192
	s_or_b64 vcc, s[0:1], vcc
	v_addc_co_u32_e32 v17, vcc, 0, v21, vcc
	v_cmp_gt_i32_e32 vcc, 31, v26
	s_waitcnt lgkmcnt(0)
	v_lshrrev_b32_e32 v28, 16, v7
	v_mul_f16_sdwa v21, v15, v28 dst_sel:DWORD dst_unused:UNUSED_PAD src0_sel:WORD_1 src1_sel:DWORD
	v_fma_f16 v21, v15, v7, v21
	v_cvt_f32_f16_e32 v21, v21
	v_cndmask_b32_e32 v17, v20, v17, vcc
	v_cmp_ne_u32_e32 vcc, 0, v19
	v_cndmask_b32_e64 v19, 0, 1, vcc
	v_cvt_f64_f32_e32 v[21:22], v21
	v_lshl_or_b32 v19, v19, 9, v20
	v_cmp_eq_u32_e32 vcc, s10, v26
	v_cndmask_b32_e32 v17, v17, v19, vcc
	v_mul_f64 v[21:22], v[21:22], s[2:3]
	v_lshrrev_b32_e32 v19, 16, v27
	v_and_or_b32 v17, v19, s11, v17
	v_and_b32_e32 v1, 0xffff, v1
	v_add_co_u32_e32 v24, vcc, s4, v24
	v_lshl_or_b32 v1, v17, 16, v1
	v_addc_co_u32_e32 v25, vcc, v25, v18, vcc
	global_store_dword v[24:25], v1, off
	v_and_or_b32 v1, v22, s6, v21
	v_cmp_ne_u32_e32 vcc, 0, v1
	v_cndmask_b32_e64 v1, 0, 1, vcc
	v_lshrrev_b32_e32 v17, 8, v22
	v_bfe_u32 v19, v22, 20, 11
	v_and_or_b32 v1, v17, s7, v1
	v_sub_u32_e32 v21, 0x3f1, v19
	v_mul_f16_sdwa v7, v15, v7 dst_sel:DWORD dst_unused:UNUSED_PAD src0_sel:WORD_1 src1_sel:DWORD
	v_or_b32_e32 v17, 0x1000, v1
	v_med3_i32 v21, v21, 0, 13
	v_fma_f16 v7, v15, v28, -v7
	v_lshrrev_b32_e32 v26, v21, v17
	v_cvt_f32_f16_e32 v7, v7
	v_lshlrev_b32_e32 v21, v21, v26
	v_cmp_ne_u32_e32 vcc, v21, v17
	v_cndmask_b32_e64 v17, 0, 1, vcc
	v_or_b32_e32 v17, v26, v17
	v_add_u32_e32 v19, 0xfffffc10, v19
	v_cvt_f64_f32_e32 v[26:27], v7
	v_lshl_or_b32 v21, v19, 12, v1
	v_cmp_gt_i32_e32 vcc, 1, v19
	v_cndmask_b32_e32 v17, v21, v17, vcc
	v_and_b32_e32 v21, 7, v17
	v_cmp_lt_i32_e32 vcc, 5, v21
	v_cmp_eq_u32_e64 s[0:1], 3, v21
	v_mul_f64 v[26:27], v[26:27], s[2:3]
	v_lshrrev_b32_e32 v15, 2, v17
	s_or_b64 vcc, s[0:1], vcc
	v_addc_co_u32_e32 v7, vcc, 0, v15, vcc
	v_cmp_gt_i32_e32 vcc, 31, v19
	v_cndmask_b32_e32 v7, v20, v7, vcc
	v_cmp_ne_u32_e32 vcc, 0, v1
	v_cndmask_b32_e64 v1, 0, 1, vcc
	v_lshl_or_b32 v1, v1, 9, v20
	v_cmp_eq_u32_e32 vcc, s10, v19
	v_cndmask_b32_e32 v1, v7, v1, vcc
	v_lshrrev_b32_e32 v7, 16, v22
	v_and_or_b32 v1, v7, s11, v1
	v_and_or_b32 v7, v27, s6, v26
	v_cmp_ne_u32_e32 vcc, 0, v7
	v_cndmask_b32_e64 v7, 0, 1, vcc
	v_lshrrev_b32_e32 v15, 8, v27
	v_bfe_u32 v17, v27, 20, 11
	v_and_or_b32 v7, v15, s7, v7
	v_sub_u32_e32 v19, 0x3f1, v17
	v_or_b32_e32 v15, 0x1000, v7
	v_med3_i32 v19, v19, 0, 13
	v_lshrrev_b32_e32 v21, v19, v15
	v_lshlrev_b32_e32 v19, v19, v21
	v_cmp_ne_u32_e32 vcc, v19, v15
	v_cndmask_b32_e64 v15, 0, 1, vcc
	v_add_u32_e32 v17, 0xfffffc10, v17
	v_or_b32_e32 v15, v21, v15
	v_lshl_or_b32 v19, v17, 12, v7
	v_cmp_gt_i32_e32 vcc, 1, v17
	v_cndmask_b32_e32 v15, v19, v15, vcc
	v_and_b32_e32 v19, 7, v15
	v_cmp_lt_i32_e32 vcc, 5, v19
	v_cmp_eq_u32_e64 s[0:1], 3, v19
	v_lshrrev_b32_e32 v19, 16, v2
	v_mul_f16_sdwa v21, v16, v19 dst_sel:DWORD dst_unused:UNUSED_PAD src0_sel:WORD_1 src1_sel:DWORD
	v_fma_f16 v21, v16, v2, v21
	v_cvt_f32_f16_e32 v21, v21
	v_lshrrev_b32_e32 v15, 2, v15
	s_or_b64 vcc, s[0:1], vcc
	v_addc_co_u32_e32 v15, vcc, 0, v15, vcc
	v_cvt_f64_f32_e32 v[21:22], v21
	v_cmp_gt_i32_e32 vcc, 31, v17
	v_cndmask_b32_e32 v15, v20, v15, vcc
	v_cmp_ne_u32_e32 vcc, 0, v7
	v_mul_f64 v[21:22], v[21:22], s[2:3]
	v_cndmask_b32_e64 v7, 0, 1, vcc
	v_lshl_or_b32 v7, v7, 9, v20
	v_cmp_eq_u32_e32 vcc, s10, v17
	v_cndmask_b32_e32 v7, v15, v7, vcc
	v_lshrrev_b32_e32 v15, 16, v27
	v_and_or_b32 v7, v15, s11, v7
	v_and_b32_e32 v1, 0xffff, v1
	v_add_co_u32_e32 v24, vcc, s4, v24
	v_lshl_or_b32 v1, v7, 16, v1
	v_addc_co_u32_e32 v25, vcc, v25, v18, vcc
	global_store_dword v[24:25], v1, off
	v_and_or_b32 v1, v22, s6, v21
	v_cmp_ne_u32_e32 vcc, 0, v1
	v_cndmask_b32_e64 v1, 0, 1, vcc
	v_lshrrev_b32_e32 v7, 8, v22
	v_bfe_u32 v15, v22, 20, 11
	v_and_or_b32 v7, v7, s7, v1
	v_sub_u32_e32 v17, 0x3f1, v15
	v_or_b32_e32 v1, 0x1000, v7
	v_med3_i32 v17, v17, 0, 13
	v_lshrrev_b32_e32 v21, v17, v1
	v_mul_f16_sdwa v2, v16, v2 dst_sel:DWORD dst_unused:UNUSED_PAD src0_sel:WORD_1 src1_sel:DWORD
	v_lshlrev_b32_e32 v17, v17, v21
	v_fma_f16 v2, v16, v19, -v2
	v_cmp_ne_u32_e32 vcc, v17, v1
	v_cvt_f32_f16_e32 v2, v2
	v_cndmask_b32_e64 v1, 0, 1, vcc
	v_add_u32_e32 v15, 0xfffffc10, v15
	v_or_b32_e32 v1, v21, v1
	v_lshl_or_b32 v17, v15, 12, v7
	v_cmp_gt_i32_e32 vcc, 1, v15
	v_cndmask_b32_e32 v1, v17, v1, vcc
	v_and_b32_e32 v17, 7, v1
	v_lshrrev_b32_e32 v16, 2, v1
	v_cvt_f64_f32_e32 v[1:2], v2
	v_cmp_lt_i32_e32 vcc, 5, v17
	v_cmp_eq_u32_e64 s[0:1], 3, v17
	s_or_b64 vcc, s[0:1], vcc
	v_mul_f64 v[1:2], v[1:2], s[2:3]
	v_addc_co_u32_e32 v16, vcc, 0, v16, vcc
	v_cmp_gt_i32_e32 vcc, 31, v15
	v_cndmask_b32_e32 v16, v20, v16, vcc
	v_cmp_ne_u32_e32 vcc, 0, v7
	v_cndmask_b32_e64 v7, 0, 1, vcc
	v_lshl_or_b32 v7, v7, 9, v20
	v_cmp_eq_u32_e32 vcc, s10, v15
	v_and_or_b32 v1, v2, s6, v1
	v_cndmask_b32_e32 v7, v16, v7, vcc
	v_lshrrev_b32_e32 v15, 16, v22
	v_cmp_ne_u32_e32 vcc, 0, v1
	v_and_or_b32 v7, v15, s11, v7
	v_cndmask_b32_e64 v1, 0, 1, vcc
	v_lshrrev_b32_e32 v15, 8, v2
	v_bfe_u32 v16, v2, 20, 11
	v_and_or_b32 v1, v15, s7, v1
	v_sub_u32_e32 v17, 0x3f1, v16
	v_or_b32_e32 v15, 0x1000, v1
	v_med3_i32 v17, v17, 0, 13
	v_lshrrev_b32_e32 v19, v17, v15
	v_lshlrev_b32_e32 v17, v17, v19
	v_cmp_ne_u32_e32 vcc, v17, v15
	v_cndmask_b32_e64 v15, 0, 1, vcc
	v_add_u32_e32 v16, 0xfffffc10, v16
	v_or_b32_e32 v15, v19, v15
	v_lshl_or_b32 v17, v16, 12, v1
	v_cmp_gt_i32_e32 vcc, 1, v16
	v_cndmask_b32_e32 v15, v17, v15, vcc
	v_and_b32_e32 v17, 7, v15
	v_cmp_lt_i32_e32 vcc, 5, v17
	v_cmp_eq_u32_e64 s[0:1], 3, v17
	v_lshrrev_b32_e32 v17, 16, v0
	v_lshrrev_b32_e32 v15, 2, v15
	s_or_b64 vcc, s[0:1], vcc
	v_mul_f16_sdwa v19, v14, v17 dst_sel:DWORD dst_unused:UNUSED_PAD src0_sel:WORD_1 src1_sel:DWORD
	v_addc_co_u32_e32 v15, vcc, 0, v15, vcc
	v_fma_f16 v19, v14, v0, v19
	v_cmp_gt_i32_e32 vcc, 31, v16
	v_cvt_f32_f16_e32 v19, v19
	v_cndmask_b32_e32 v15, v20, v15, vcc
	v_cmp_ne_u32_e32 vcc, 0, v1
	v_cndmask_b32_e64 v1, 0, 1, vcc
	v_lshl_or_b32 v1, v1, 9, v20
	v_cmp_eq_u32_e32 vcc, s10, v16
	v_cndmask_b32_e32 v1, v15, v1, vcc
	v_cvt_f64_f32_e32 v[15:16], v19
	v_lshrrev_b32_e32 v2, 16, v2
	v_and_or_b32 v19, v2, s11, v1
	v_and_b32_e32 v7, 0xffff, v7
	v_mul_f64 v[1:2], v[15:16], s[2:3]
	v_mad_u64_u32 v[15:16], s[0:1], s8, v13, v[24:25]
	s_mul_i32 s0, s9, 0xfffffd40
	s_sub_i32 s0, s0, s8
	v_lshl_or_b32 v7, v19, 16, v7
	v_add_u32_e32 v16, s0, v16
	global_store_dword v[15:16], v7, off
	v_and_or_b32 v1, v2, s6, v1
	v_cmp_ne_u32_e32 vcc, 0, v1
	v_cndmask_b32_e64 v1, 0, 1, vcc
	v_lshrrev_b32_e32 v7, 8, v2
	v_bfe_u32 v13, v2, 20, 11
	v_and_or_b32 v7, v7, s7, v1
	v_sub_u32_e32 v19, 0x3f1, v13
	v_or_b32_e32 v1, 0x1000, v7
	v_med3_i32 v19, v19, 0, 13
	v_lshrrev_b32_e32 v21, v19, v1
	v_mul_f16_sdwa v0, v14, v0 dst_sel:DWORD dst_unused:UNUSED_PAD src0_sel:WORD_1 src1_sel:DWORD
	v_lshlrev_b32_e32 v19, v19, v21
	v_fma_f16 v0, v14, v17, -v0
	v_cmp_ne_u32_e32 vcc, v19, v1
	v_cvt_f32_f16_e32 v0, v0
	v_cndmask_b32_e64 v1, 0, 1, vcc
	v_add_u32_e32 v13, 0xfffffc10, v13
	v_or_b32_e32 v1, v21, v1
	v_lshl_or_b32 v19, v13, 12, v7
	v_cmp_gt_i32_e32 vcc, 1, v13
	v_cndmask_b32_e32 v1, v19, v1, vcc
	v_and_b32_e32 v19, 7, v1
	v_lshrrev_b32_e32 v14, 2, v1
	v_cvt_f64_f32_e32 v[0:1], v0
	v_cmp_lt_i32_e32 vcc, 5, v19
	v_cmp_eq_u32_e64 s[0:1], 3, v19
	s_or_b64 vcc, s[0:1], vcc
	v_mul_f64 v[0:1], v[0:1], s[2:3]
	v_addc_co_u32_e32 v14, vcc, 0, v14, vcc
	v_cmp_gt_i32_e32 vcc, 31, v13
	v_cndmask_b32_e32 v14, v20, v14, vcc
	v_cmp_ne_u32_e32 vcc, 0, v7
	v_cndmask_b32_e64 v7, 0, 1, vcc
	v_lshl_or_b32 v7, v7, 9, v20
	v_cmp_eq_u32_e32 vcc, s10, v13
	v_and_or_b32 v0, v1, s6, v0
	v_cndmask_b32_e32 v7, v14, v7, vcc
	v_lshrrev_b32_e32 v2, 16, v2
	v_cmp_ne_u32_e32 vcc, 0, v0
	v_and_or_b32 v2, v2, s11, v7
	v_cndmask_b32_e64 v0, 0, 1, vcc
	v_lshrrev_b32_e32 v7, 8, v1
	v_bfe_u32 v13, v1, 20, 11
	v_and_or_b32 v0, v7, s7, v0
	v_sub_u32_e32 v14, 0x3f1, v13
	v_or_b32_e32 v7, 0x1000, v0
	v_med3_i32 v14, v14, 0, 13
	v_lshrrev_b32_e32 v17, v14, v7
	v_lshlrev_b32_e32 v14, v14, v17
	v_cmp_ne_u32_e32 vcc, v14, v7
	v_cndmask_b32_e64 v7, 0, 1, vcc
	v_or_b32_e32 v7, v17, v7
	v_add_u32_e32 v17, 0xfffffc10, v13
	v_lshl_or_b32 v13, v17, 12, v0
	v_cmp_gt_i32_e32 vcc, 1, v17
	v_cndmask_b32_e32 v7, v13, v7, vcc
	v_and_b32_e32 v13, 7, v7
	v_lshrrev_b32_e32 v19, 16, v3
	v_cmp_lt_i32_e32 vcc, 5, v13
	v_cmp_eq_u32_e64 s[0:1], 3, v13
	v_mul_f16_sdwa v13, v12, v19 dst_sel:DWORD dst_unused:UNUSED_PAD src0_sel:WORD_1 src1_sel:DWORD
	v_fma_f16 v13, v12, v3, v13
	v_cvt_f32_f16_e32 v13, v13
	v_lshrrev_b32_e32 v7, 2, v7
	s_or_b64 vcc, s[0:1], vcc
	v_addc_co_u32_e32 v7, vcc, 0, v7, vcc
	v_cmp_gt_i32_e32 vcc, 31, v17
	v_cndmask_b32_e32 v7, v20, v7, vcc
	v_cmp_ne_u32_e32 vcc, 0, v0
	v_cvt_f64_f32_e32 v[13:14], v13
	v_cndmask_b32_e64 v0, 0, 1, vcc
	v_lshl_or_b32 v0, v0, 9, v20
	v_cmp_eq_u32_e32 vcc, s10, v17
	v_cndmask_b32_e32 v0, v7, v0, vcc
	v_lshrrev_b32_e32 v1, 16, v1
	v_and_or_b32 v7, v1, s11, v0
	v_mul_f64 v[0:1], v[13:14], s[2:3]
	v_add_co_u32_e32 v13, vcc, s4, v15
	v_and_b32_e32 v2, 0xffff, v2
	v_addc_co_u32_e32 v14, vcc, v16, v18, vcc
	v_lshl_or_b32 v2, v7, 16, v2
	global_store_dword v[13:14], v2, off
	v_and_or_b32 v0, v1, s6, v0
	v_cmp_ne_u32_e32 vcc, 0, v0
	v_cndmask_b32_e64 v0, 0, 1, vcc
	v_lshrrev_b32_e32 v2, 8, v1
	v_bfe_u32 v7, v1, 20, 11
	v_and_or_b32 v0, v2, s7, v0
	v_sub_u32_e32 v15, 0x3f1, v7
	v_or_b32_e32 v2, 0x1000, v0
	v_med3_i32 v15, v15, 0, 13
	v_lshrrev_b32_e32 v16, v15, v2
	v_mul_f16_sdwa v3, v12, v3 dst_sel:DWORD dst_unused:UNUSED_PAD src0_sel:WORD_1 src1_sel:DWORD
	v_lshlrev_b32_e32 v15, v15, v16
	v_fma_f16 v3, v12, v19, -v3
	v_cmp_ne_u32_e32 vcc, v15, v2
	v_cvt_f32_f16_e32 v3, v3
	v_cndmask_b32_e64 v2, 0, 1, vcc
	v_add_u32_e32 v7, 0xfffffc10, v7
	v_or_b32_e32 v2, v16, v2
	v_lshl_or_b32 v15, v7, 12, v0
	v_cmp_gt_i32_e32 vcc, 1, v7
	v_cndmask_b32_e32 v2, v15, v2, vcc
	v_and_b32_e32 v15, 7, v2
	v_lshrrev_b32_e32 v12, 2, v2
	v_cvt_f64_f32_e32 v[2:3], v3
	v_cmp_lt_i32_e32 vcc, 5, v15
	v_cmp_eq_u32_e64 s[0:1], 3, v15
	s_or_b64 vcc, s[0:1], vcc
	v_mul_f64 v[2:3], v[2:3], s[2:3]
	v_addc_co_u32_e32 v12, vcc, 0, v12, vcc
	v_cmp_gt_i32_e32 vcc, 31, v7
	v_cndmask_b32_e32 v12, v20, v12, vcc
	v_cmp_ne_u32_e32 vcc, 0, v0
	v_cndmask_b32_e64 v0, 0, 1, vcc
	v_lshl_or_b32 v0, v0, 9, v20
	v_cmp_eq_u32_e32 vcc, s10, v7
	v_cndmask_b32_e32 v0, v12, v0, vcc
	v_lshrrev_b32_e32 v1, 16, v1
	v_and_or_b32 v7, v1, s11, v0
	v_and_or_b32 v0, v3, s6, v2
	v_cmp_ne_u32_e32 vcc, 0, v0
	v_cndmask_b32_e64 v0, 0, 1, vcc
	v_lshrrev_b32_e32 v1, 8, v3
	v_bfe_u32 v2, v3, 20, 11
	v_and_or_b32 v0, v1, s7, v0
	v_sub_u32_e32 v12, 0x3f1, v2
	v_or_b32_e32 v1, 0x1000, v0
	v_med3_i32 v12, v12, 0, 13
	v_lshrrev_b32_e32 v15, v12, v1
	v_lshlrev_b32_e32 v12, v12, v15
	v_cmp_ne_u32_e32 vcc, v12, v1
	v_cndmask_b32_e64 v1, 0, 1, vcc
	v_add_u32_e32 v2, 0xfffffc10, v2
	v_or_b32_e32 v1, v15, v1
	v_lshl_or_b32 v12, v2, 12, v0
	v_cmp_gt_i32_e32 vcc, 1, v2
	v_cndmask_b32_e32 v1, v12, v1, vcc
	v_and_b32_e32 v12, 7, v1
	v_cmp_lt_i32_e32 vcc, 5, v12
	v_cmp_eq_u32_e64 s[0:1], 3, v12
	v_lshrrev_b32_e32 v1, 2, v1
	s_or_b64 vcc, s[0:1], vcc
	v_addc_co_u32_e32 v1, vcc, 0, v1, vcc
	v_cmp_gt_i32_e32 vcc, 31, v2
	v_lshrrev_b32_e32 v15, 16, v4
	v_cndmask_b32_e32 v12, v20, v1, vcc
	v_mul_f16_sdwa v1, v10, v15 dst_sel:DWORD dst_unused:UNUSED_PAD src0_sel:WORD_1 src1_sel:DWORD
	v_fma_f16 v1, v10, v4, v1
	v_cvt_f32_f16_e32 v1, v1
	v_cmp_ne_u32_e32 vcc, 0, v0
	v_cndmask_b32_e64 v0, 0, 1, vcc
	v_lshl_or_b32 v16, v0, 9, v20
	v_cvt_f64_f32_e32 v[0:1], v1
	v_cmp_eq_u32_e32 vcc, s10, v2
	v_cndmask_b32_e32 v2, v12, v16, vcc
	v_lshrrev_b32_e32 v3, 16, v3
	v_mul_f64 v[0:1], v[0:1], s[2:3]
	v_and_or_b32 v2, v3, s11, v2
	v_and_b32_e32 v3, 0xffff, v7
	v_lshl_or_b32 v7, v2, 16, v3
	v_add_co_u32_e32 v2, vcc, s4, v13
	v_addc_co_u32_e32 v3, vcc, v14, v18, vcc
	v_and_or_b32 v0, v1, s6, v0
	v_cmp_ne_u32_e32 vcc, 0, v0
	global_store_dword v[2:3], v7, off
	v_cndmask_b32_e64 v0, 0, 1, vcc
	v_lshrrev_b32_e32 v7, 8, v1
	v_bfe_u32 v12, v1, 20, 11
	v_and_or_b32 v0, v7, s7, v0
	v_sub_u32_e32 v13, 0x3f1, v12
	v_or_b32_e32 v7, 0x1000, v0
	v_med3_i32 v13, v13, 0, 13
	v_lshrrev_b32_e32 v14, v13, v7
	v_lshlrev_b32_e32 v13, v13, v14
	v_cmp_ne_u32_e32 vcc, v13, v7
	v_mul_f16_sdwa v4, v10, v4 dst_sel:DWORD dst_unused:UNUSED_PAD src0_sel:WORD_1 src1_sel:DWORD
	v_cndmask_b32_e64 v7, 0, 1, vcc
	v_fma_f16 v4, v10, v15, -v4
	v_or_b32_e32 v7, v14, v7
	v_add_u32_e32 v14, 0xfffffc10, v12
	v_cvt_f32_f16_e32 v4, v4
	v_lshl_or_b32 v12, v14, 12, v0
	v_cmp_gt_i32_e32 vcc, 1, v14
	v_cndmask_b32_e32 v7, v12, v7, vcc
	v_and_b32_e32 v12, 7, v7
	v_cmp_lt_i32_e32 vcc, 5, v12
	v_cmp_eq_u32_e64 s[0:1], 3, v12
	v_cvt_f64_f32_e32 v[12:13], v4
	v_lshrrev_b32_e32 v7, 2, v7
	s_or_b64 vcc, s[0:1], vcc
	v_addc_co_u32_e32 v4, vcc, 0, v7, vcc
	v_mul_f64 v[12:13], v[12:13], s[2:3]
	v_cmp_gt_i32_e32 vcc, 31, v14
	v_cndmask_b32_e32 v4, v20, v4, vcc
	v_cmp_ne_u32_e32 vcc, 0, v0
	v_cndmask_b32_e64 v0, 0, 1, vcc
	v_lshl_or_b32 v0, v0, 9, v20
	v_cmp_eq_u32_e32 vcc, s10, v14
	v_cndmask_b32_e32 v0, v4, v0, vcc
	v_lshrrev_b32_e32 v1, 16, v1
	v_and_or_b32 v4, v1, s11, v0
	v_and_or_b32 v0, v13, s6, v12
	v_cmp_ne_u32_e32 vcc, 0, v0
	v_cndmask_b32_e64 v0, 0, 1, vcc
	v_lshrrev_b32_e32 v1, 8, v13
	v_bfe_u32 v7, v13, 20, 11
	v_and_or_b32 v0, v1, s7, v0
	v_sub_u32_e32 v10, 0x3f1, v7
	v_or_b32_e32 v1, 0x1000, v0
	v_med3_i32 v10, v10, 0, 13
	v_lshrrev_b32_e32 v12, v10, v1
	v_lshlrev_b32_e32 v10, v10, v12
	v_cmp_ne_u32_e32 vcc, v10, v1
	v_cndmask_b32_e64 v1, 0, 1, vcc
	v_add_u32_e32 v7, 0xfffffc10, v7
	v_or_b32_e32 v1, v12, v1
	v_lshl_or_b32 v10, v7, 12, v0
	v_cmp_gt_i32_e32 vcc, 1, v7
	v_cndmask_b32_e32 v1, v10, v1, vcc
	v_and_b32_e32 v10, 7, v1
	v_cmp_lt_i32_e32 vcc, 5, v10
	v_cmp_eq_u32_e64 s[0:1], 3, v10
	v_lshrrev_b32_e32 v1, 2, v1
	s_or_b64 vcc, s[0:1], vcc
	v_addc_co_u32_e32 v1, vcc, 0, v1, vcc
	v_cmp_gt_i32_e32 vcc, 31, v7
	v_lshrrev_b32_e32 v12, 16, v5
	v_cndmask_b32_e32 v10, v20, v1, vcc
	v_mul_f16_sdwa v1, v11, v12 dst_sel:DWORD dst_unused:UNUSED_PAD src0_sel:WORD_1 src1_sel:DWORD
	v_fma_f16 v1, v11, v5, v1
	v_cvt_f32_f16_e32 v1, v1
	v_cmp_ne_u32_e32 vcc, 0, v0
	v_cndmask_b32_e64 v0, 0, 1, vcc
	v_lshl_or_b32 v14, v0, 9, v20
	v_cvt_f64_f32_e32 v[0:1], v1
	v_cmp_eq_u32_e32 vcc, s10, v7
	v_cndmask_b32_e32 v7, v10, v14, vcc
	v_lshrrev_b32_e32 v10, 16, v13
	v_mul_f64 v[0:1], v[0:1], s[2:3]
	v_add_co_u32_e32 v2, vcc, s4, v2
	v_and_or_b32 v7, v10, s11, v7
	v_and_b32_e32 v4, 0xffff, v4
	v_addc_co_u32_e32 v3, vcc, v3, v18, vcc
	v_lshl_or_b32 v4, v7, 16, v4
	v_and_or_b32 v0, v1, s6, v0
	v_cmp_ne_u32_e32 vcc, 0, v0
	global_store_dword v[2:3], v4, off
	v_cndmask_b32_e64 v0, 0, 1, vcc
	v_lshrrev_b32_e32 v4, 8, v1
	v_bfe_u32 v7, v1, 20, 11
	v_and_or_b32 v0, v4, s7, v0
	v_sub_u32_e32 v10, 0x3f1, v7
	v_or_b32_e32 v4, 0x1000, v0
	v_med3_i32 v10, v10, 0, 13
	v_lshrrev_b32_e32 v13, v10, v4
	v_lshlrev_b32_e32 v10, v10, v13
	v_mul_f16_sdwa v5, v11, v5 dst_sel:DWORD dst_unused:UNUSED_PAD src0_sel:WORD_1 src1_sel:DWORD
	v_cmp_ne_u32_e32 vcc, v10, v4
	v_fma_f16 v5, v11, v12, -v5
	v_cndmask_b32_e64 v4, 0, 1, vcc
	v_add_u32_e32 v7, 0xfffffc10, v7
	v_cvt_f32_f16_e32 v5, v5
	v_or_b32_e32 v4, v13, v4
	v_lshl_or_b32 v10, v7, 12, v0
	v_cmp_gt_i32_e32 vcc, 1, v7
	v_cndmask_b32_e32 v4, v10, v4, vcc
	v_and_b32_e32 v10, 7, v4
	v_cmp_lt_i32_e32 vcc, 5, v10
	v_cmp_eq_u32_e64 s[0:1], 3, v10
	v_lshrrev_b32_e32 v10, 2, v4
	v_cvt_f64_f32_e32 v[4:5], v5
	s_or_b64 vcc, s[0:1], vcc
	v_addc_co_u32_e32 v10, vcc, 0, v10, vcc
	v_mul_f64 v[4:5], v[4:5], s[2:3]
	v_cmp_gt_i32_e32 vcc, 31, v7
	v_cndmask_b32_e32 v10, v20, v10, vcc
	v_cmp_ne_u32_e32 vcc, 0, v0
	v_cndmask_b32_e64 v0, 0, 1, vcc
	v_lshl_or_b32 v0, v0, 9, v20
	v_cmp_eq_u32_e32 vcc, s10, v7
	v_cndmask_b32_e32 v0, v10, v0, vcc
	v_lshrrev_b32_e32 v1, 16, v1
	v_and_or_b32 v7, v1, s11, v0
	v_and_or_b32 v0, v5, s6, v4
	v_cmp_ne_u32_e32 vcc, 0, v0
	v_cndmask_b32_e64 v0, 0, 1, vcc
	v_lshrrev_b32_e32 v1, 8, v5
	v_bfe_u32 v4, v5, 20, 11
	v_and_or_b32 v0, v1, s7, v0
	v_sub_u32_e32 v10, 0x3f1, v4
	v_or_b32_e32 v1, 0x1000, v0
	v_med3_i32 v10, v10, 0, 13
	v_lshrrev_b32_e32 v11, v10, v1
	v_lshlrev_b32_e32 v10, v10, v11
	v_cmp_ne_u32_e32 vcc, v10, v1
	v_cndmask_b32_e64 v1, 0, 1, vcc
	v_add_u32_e32 v4, 0xfffffc10, v4
	v_or_b32_e32 v1, v11, v1
	v_lshl_or_b32 v10, v4, 12, v0
	v_cmp_gt_i32_e32 vcc, 1, v4
	v_cndmask_b32_e32 v1, v10, v1, vcc
	v_and_b32_e32 v10, 7, v1
	v_cmp_lt_i32_e32 vcc, 5, v10
	v_cmp_eq_u32_e64 s[0:1], 3, v10
	v_lshrrev_b32_e32 v1, 2, v1
	s_or_b64 vcc, s[0:1], vcc
	v_addc_co_u32_e32 v1, vcc, 0, v1, vcc
	v_cmp_gt_i32_e32 vcc, 31, v4
	v_lshrrev_b32_e32 v11, 16, v6
	v_cndmask_b32_e32 v10, v20, v1, vcc
	v_mul_f16_sdwa v1, v9, v11 dst_sel:DWORD dst_unused:UNUSED_PAD src0_sel:WORD_1 src1_sel:DWORD
	v_fma_f16 v1, v9, v6, v1
	v_cvt_f32_f16_e32 v1, v1
	v_cmp_ne_u32_e32 vcc, 0, v0
	v_cndmask_b32_e64 v0, 0, 1, vcc
	v_lshl_or_b32 v12, v0, 9, v20
	v_cvt_f64_f32_e32 v[0:1], v1
	v_cmp_eq_u32_e32 vcc, s10, v4
	v_cndmask_b32_e32 v4, v10, v12, vcc
	v_lshrrev_b32_e32 v5, 16, v5
	v_mul_f64 v[0:1], v[0:1], s[2:3]
	v_add_co_u32_e32 v2, vcc, s4, v2
	v_and_or_b32 v4, v5, s11, v4
	v_and_b32_e32 v5, 0xffff, v7
	v_addc_co_u32_e32 v3, vcc, v3, v18, vcc
	v_lshl_or_b32 v4, v4, 16, v5
	v_and_or_b32 v0, v1, s6, v0
	v_cmp_ne_u32_e32 vcc, 0, v0
	global_store_dword v[2:3], v4, off
	v_cndmask_b32_e64 v0, 0, 1, vcc
	v_lshrrev_b32_e32 v4, 8, v1
	v_bfe_u32 v5, v1, 20, 11
	v_and_or_b32 v0, v4, s7, v0
	v_sub_u32_e32 v7, 0x3f1, v5
	v_or_b32_e32 v4, 0x1000, v0
	v_med3_i32 v7, v7, 0, 13
	v_lshrrev_b32_e32 v10, v7, v4
	v_lshlrev_b32_e32 v7, v7, v10
	v_mul_f16_sdwa v6, v9, v6 dst_sel:DWORD dst_unused:UNUSED_PAD src0_sel:WORD_1 src1_sel:DWORD
	v_cmp_ne_u32_e32 vcc, v7, v4
	v_fma_f16 v6, v9, v11, -v6
	v_cndmask_b32_e64 v4, 0, 1, vcc
	v_add_u32_e32 v7, 0xfffffc10, v5
	v_cvt_f32_f16_e32 v6, v6
	v_or_b32_e32 v4, v10, v4
	v_lshl_or_b32 v5, v7, 12, v0
	v_cmp_gt_i32_e32 vcc, 1, v7
	v_cndmask_b32_e32 v4, v5, v4, vcc
	v_and_b32_e32 v5, 7, v4
	v_cmp_lt_i32_e32 vcc, 5, v5
	v_cmp_eq_u32_e64 s[0:1], 3, v5
	v_lshrrev_b32_e32 v9, 2, v4
	v_cvt_f64_f32_e32 v[4:5], v6
	s_or_b64 vcc, s[0:1], vcc
	v_addc_co_u32_e32 v6, vcc, 0, v9, vcc
	v_mul_f64 v[4:5], v[4:5], s[2:3]
	v_cmp_gt_i32_e32 vcc, 31, v7
	v_cndmask_b32_e32 v6, v20, v6, vcc
	v_cmp_ne_u32_e32 vcc, 0, v0
	v_cndmask_b32_e64 v0, 0, 1, vcc
	v_lshl_or_b32 v0, v0, 9, v20
	v_cmp_eq_u32_e32 vcc, s10, v7
	v_cndmask_b32_e32 v0, v6, v0, vcc
	v_lshrrev_b32_e32 v1, 16, v1
	v_and_or_b32 v6, v1, s11, v0
	v_and_or_b32 v0, v5, s6, v4
	v_cmp_ne_u32_e32 vcc, 0, v0
	v_cndmask_b32_e64 v0, 0, 1, vcc
	v_lshrrev_b32_e32 v1, 8, v5
	v_bfe_u32 v4, v5, 20, 11
	v_and_or_b32 v0, v1, s7, v0
	v_sub_u32_e32 v7, 0x3f1, v4
	v_or_b32_e32 v1, 0x1000, v0
	v_med3_i32 v7, v7, 0, 13
	v_lshrrev_b32_e32 v9, v7, v1
	v_lshlrev_b32_e32 v7, v7, v9
	v_cmp_ne_u32_e32 vcc, v7, v1
	v_cndmask_b32_e64 v1, 0, 1, vcc
	v_add_u32_e32 v4, 0xfffffc10, v4
	v_or_b32_e32 v1, v9, v1
	v_lshl_or_b32 v7, v4, 12, v0
	v_cmp_gt_i32_e32 vcc, 1, v4
	v_cndmask_b32_e32 v1, v7, v1, vcc
	v_and_b32_e32 v7, 7, v1
	v_cmp_lt_i32_e32 vcc, 5, v7
	v_cmp_eq_u32_e64 s[0:1], 3, v7
	v_lshrrev_b32_e32 v1, 2, v1
	s_or_b64 vcc, s[0:1], vcc
	v_addc_co_u32_e32 v1, vcc, 0, v1, vcc
	v_cmp_gt_i32_e32 vcc, 31, v4
	v_lshrrev_b32_e32 v9, 16, v23
	v_cndmask_b32_e32 v7, v20, v1, vcc
	v_mul_f16_sdwa v1, v8, v9 dst_sel:DWORD dst_unused:UNUSED_PAD src0_sel:WORD_1 src1_sel:DWORD
	v_fma_f16 v1, v8, v23, v1
	v_cvt_f32_f16_e32 v1, v1
	v_cmp_ne_u32_e32 vcc, 0, v0
	v_cndmask_b32_e64 v0, 0, 1, vcc
	v_lshl_or_b32 v10, v0, 9, v20
	v_cvt_f64_f32_e32 v[0:1], v1
	v_cmp_eq_u32_e32 vcc, s10, v4
	v_cndmask_b32_e32 v4, v7, v10, vcc
	v_lshrrev_b32_e32 v5, 16, v5
	v_mul_f64 v[0:1], v[0:1], s[2:3]
	v_add_co_u32_e32 v2, vcc, s4, v2
	v_and_or_b32 v4, v5, s11, v4
	v_and_b32_e32 v5, 0xffff, v6
	v_addc_co_u32_e32 v3, vcc, v3, v18, vcc
	v_lshl_or_b32 v4, v4, 16, v5
	v_and_or_b32 v0, v1, s6, v0
	v_cmp_ne_u32_e32 vcc, 0, v0
	global_store_dword v[2:3], v4, off
	v_cndmask_b32_e64 v0, 0, 1, vcc
	v_lshrrev_b32_e32 v4, 8, v1
	v_bfe_u32 v5, v1, 20, 11
	v_and_or_b32 v0, v4, s7, v0
	v_sub_u32_e32 v6, 0x3f1, v5
	v_or_b32_e32 v4, 0x1000, v0
	v_med3_i32 v6, v6, 0, 13
	v_lshrrev_b32_e32 v7, v6, v4
	v_lshlrev_b32_e32 v6, v6, v7
	v_cmp_ne_u32_e32 vcc, v6, v4
	v_cndmask_b32_e64 v4, 0, 1, vcc
	v_or_b32_e32 v4, v7, v4
	v_mul_f16_sdwa v7, v8, v23 dst_sel:DWORD dst_unused:UNUSED_PAD src0_sel:WORD_1 src1_sel:DWORD
	v_fma_f16 v7, v8, v9, -v7
	v_add_u32_e32 v6, 0xfffffc10, v5
	v_cvt_f32_f16_e32 v7, v7
	v_lshl_or_b32 v5, v6, 12, v0
	v_cmp_gt_i32_e32 vcc, 1, v6
	v_cndmask_b32_e32 v4, v5, v4, vcc
	v_and_b32_e32 v5, 7, v4
	v_cmp_lt_i32_e32 vcc, 5, v5
	v_cmp_eq_u32_e64 s[0:1], 3, v5
	v_lshrrev_b32_e32 v8, 2, v4
	v_cvt_f64_f32_e32 v[4:5], v7
	s_or_b64 vcc, s[0:1], vcc
	v_addc_co_u32_e32 v7, vcc, 0, v8, vcc
	v_mul_f64 v[4:5], v[4:5], s[2:3]
	v_cmp_gt_i32_e32 vcc, 31, v6
	v_cndmask_b32_e32 v7, v20, v7, vcc
	v_cmp_ne_u32_e32 vcc, 0, v0
	v_cndmask_b32_e64 v0, 0, 1, vcc
	v_lshl_or_b32 v0, v0, 9, v20
	v_cmp_eq_u32_e32 vcc, s10, v6
	v_cndmask_b32_e32 v0, v7, v0, vcc
	v_lshrrev_b32_e32 v1, 16, v1
	v_and_or_b32 v0, v1, s11, v0
	v_and_or_b32 v1, v5, s6, v4
	v_cmp_ne_u32_e32 vcc, 0, v1
	v_cndmask_b32_e64 v1, 0, 1, vcc
	v_lshrrev_b32_e32 v4, 8, v5
	v_bfe_u32 v6, v5, 20, 11
	v_and_or_b32 v1, v4, s7, v1
	v_sub_u32_e32 v7, 0x3f1, v6
	v_or_b32_e32 v4, 0x1000, v1
	v_med3_i32 v7, v7, 0, 13
	v_lshrrev_b32_e32 v8, v7, v4
	v_lshlrev_b32_e32 v7, v7, v8
	v_cmp_ne_u32_e32 vcc, v7, v4
	v_cndmask_b32_e64 v4, 0, 1, vcc
	v_add_u32_e32 v6, 0xfffffc10, v6
	v_or_b32_e32 v4, v8, v4
	v_lshl_or_b32 v7, v6, 12, v1
	v_cmp_gt_i32_e32 vcc, 1, v6
	v_cndmask_b32_e32 v4, v7, v4, vcc
	v_and_b32_e32 v7, 7, v4
	v_cmp_lt_i32_e32 vcc, 5, v7
	v_cmp_eq_u32_e64 s[0:1], 3, v7
	v_lshrrev_b32_e32 v4, 2, v4
	s_or_b64 vcc, s[0:1], vcc
	v_addc_co_u32_e32 v4, vcc, 0, v4, vcc
	v_cmp_gt_i32_e32 vcc, 31, v6
	v_cndmask_b32_e32 v4, v20, v4, vcc
	v_cmp_ne_u32_e32 vcc, 0, v1
	v_cndmask_b32_e64 v1, 0, 1, vcc
	v_lshl_or_b32 v1, v1, 9, v20
	v_cmp_eq_u32_e32 vcc, s10, v6
	v_cndmask_b32_e32 v1, v4, v1, vcc
	v_lshrrev_b32_e32 v4, 16, v5
	v_and_or_b32 v1, v4, s11, v1
	v_and_b32_e32 v0, 0xffff, v0
	v_lshl_or_b32 v4, v1, 16, v0
	v_add_co_u32_e32 v0, vcc, s4, v2
	v_addc_co_u32_e32 v1, vcc, v3, v18, vcc
	global_store_dword v[0:1], v4, off
.LBB0_2:
	s_endpgm
	.section	.rodata,"a",@progbits
	.p2align	6, 0x0
	.amdhsa_kernel bluestein_single_fwd_len224_dim1_half_op_CI_CI
		.amdhsa_group_segment_fixed_size 3584
		.amdhsa_private_segment_fixed_size 0
		.amdhsa_kernarg_size 104
		.amdhsa_user_sgpr_count 6
		.amdhsa_user_sgpr_private_segment_buffer 1
		.amdhsa_user_sgpr_dispatch_ptr 0
		.amdhsa_user_sgpr_queue_ptr 0
		.amdhsa_user_sgpr_kernarg_segment_ptr 1
		.amdhsa_user_sgpr_dispatch_id 0
		.amdhsa_user_sgpr_flat_scratch_init 0
		.amdhsa_user_sgpr_private_segment_size 0
		.amdhsa_uses_dynamic_stack 0
		.amdhsa_system_sgpr_private_segment_wavefront_offset 0
		.amdhsa_system_sgpr_workgroup_id_x 1
		.amdhsa_system_sgpr_workgroup_id_y 0
		.amdhsa_system_sgpr_workgroup_id_z 0
		.amdhsa_system_sgpr_workgroup_info 0
		.amdhsa_system_vgpr_workitem_id 0
		.amdhsa_next_free_vgpr 98
		.amdhsa_next_free_sgpr 20
		.amdhsa_reserve_vcc 1
		.amdhsa_reserve_flat_scratch 0
		.amdhsa_float_round_mode_32 0
		.amdhsa_float_round_mode_16_64 0
		.amdhsa_float_denorm_mode_32 3
		.amdhsa_float_denorm_mode_16_64 3
		.amdhsa_dx10_clamp 1
		.amdhsa_ieee_mode 1
		.amdhsa_fp16_overflow 0
		.amdhsa_exception_fp_ieee_invalid_op 0
		.amdhsa_exception_fp_denorm_src 0
		.amdhsa_exception_fp_ieee_div_zero 0
		.amdhsa_exception_fp_ieee_overflow 0
		.amdhsa_exception_fp_ieee_underflow 0
		.amdhsa_exception_fp_ieee_inexact 0
		.amdhsa_exception_int_div_zero 0
	.end_amdhsa_kernel
	.text
.Lfunc_end0:
	.size	bluestein_single_fwd_len224_dim1_half_op_CI_CI, .Lfunc_end0-bluestein_single_fwd_len224_dim1_half_op_CI_CI
                                        ; -- End function
	.section	.AMDGPU.csdata,"",@progbits
; Kernel info:
; codeLenInByte = 19552
; NumSgprs: 24
; NumVgprs: 98
; ScratchSize: 0
; MemoryBound: 0
; FloatMode: 240
; IeeeMode: 1
; LDSByteSize: 3584 bytes/workgroup (compile time only)
; SGPRBlocks: 2
; VGPRBlocks: 24
; NumSGPRsForWavesPerEU: 24
; NumVGPRsForWavesPerEU: 98
; Occupancy: 2
; WaveLimiterHint : 1
; COMPUTE_PGM_RSRC2:SCRATCH_EN: 0
; COMPUTE_PGM_RSRC2:USER_SGPR: 6
; COMPUTE_PGM_RSRC2:TRAP_HANDLER: 0
; COMPUTE_PGM_RSRC2:TGID_X_EN: 1
; COMPUTE_PGM_RSRC2:TGID_Y_EN: 0
; COMPUTE_PGM_RSRC2:TGID_Z_EN: 0
; COMPUTE_PGM_RSRC2:TIDIG_COMP_CNT: 0
	.type	__hip_cuid_b3c72c5b908e38ba,@object ; @__hip_cuid_b3c72c5b908e38ba
	.section	.bss,"aw",@nobits
	.globl	__hip_cuid_b3c72c5b908e38ba
__hip_cuid_b3c72c5b908e38ba:
	.byte	0                               ; 0x0
	.size	__hip_cuid_b3c72c5b908e38ba, 1

	.ident	"AMD clang version 19.0.0git (https://github.com/RadeonOpenCompute/llvm-project roc-6.4.0 25133 c7fe45cf4b819c5991fe208aaa96edf142730f1d)"
	.section	".note.GNU-stack","",@progbits
	.addrsig
	.addrsig_sym __hip_cuid_b3c72c5b908e38ba
	.amdgpu_metadata
---
amdhsa.kernels:
  - .args:
      - .actual_access:  read_only
        .address_space:  global
        .offset:         0
        .size:           8
        .value_kind:     global_buffer
      - .actual_access:  read_only
        .address_space:  global
        .offset:         8
        .size:           8
        .value_kind:     global_buffer
      - .actual_access:  read_only
        .address_space:  global
        .offset:         16
        .size:           8
        .value_kind:     global_buffer
      - .actual_access:  read_only
        .address_space:  global
        .offset:         24
        .size:           8
        .value_kind:     global_buffer
      - .actual_access:  read_only
        .address_space:  global
        .offset:         32
        .size:           8
        .value_kind:     global_buffer
      - .offset:         40
        .size:           8
        .value_kind:     by_value
      - .address_space:  global
        .offset:         48
        .size:           8
        .value_kind:     global_buffer
      - .address_space:  global
        .offset:         56
        .size:           8
        .value_kind:     global_buffer
      - .address_space:  global
        .offset:         64
        .size:           8
        .value_kind:     global_buffer
      - .address_space:  global
        .offset:         72
        .size:           8
        .value_kind:     global_buffer
      - .offset:         80
        .size:           4
        .value_kind:     by_value
      - .address_space:  global
        .offset:         88
        .size:           8
        .value_kind:     global_buffer
      - .address_space:  global
        .offset:         96
        .size:           8
        .value_kind:     global_buffer
    .group_segment_fixed_size: 3584
    .kernarg_segment_align: 8
    .kernarg_segment_size: 104
    .language:       OpenCL C
    .language_version:
      - 2
      - 0
    .max_flat_workgroup_size: 64
    .name:           bluestein_single_fwd_len224_dim1_half_op_CI_CI
    .private_segment_fixed_size: 0
    .sgpr_count:     24
    .sgpr_spill_count: 0
    .symbol:         bluestein_single_fwd_len224_dim1_half_op_CI_CI.kd
    .uniform_work_group_size: 1
    .uses_dynamic_stack: false
    .vgpr_count:     98
    .vgpr_spill_count: 0
    .wavefront_size: 64
amdhsa.target:   amdgcn-amd-amdhsa--gfx906
amdhsa.version:
  - 1
  - 2
...

	.end_amdgpu_metadata
